;; amdgpu-corpus repo=ROCm/rocFFT kind=compiled arch=gfx1201 opt=O3
	.text
	.amdgcn_target "amdgcn-amd-amdhsa--gfx1201"
	.amdhsa_code_object_version 6
	.protected	bluestein_single_fwd_len1078_dim1_sp_op_CI_CI ; -- Begin function bluestein_single_fwd_len1078_dim1_sp_op_CI_CI
	.globl	bluestein_single_fwd_len1078_dim1_sp_op_CI_CI
	.p2align	8
	.type	bluestein_single_fwd_len1078_dim1_sp_op_CI_CI,@function
bluestein_single_fwd_len1078_dim1_sp_op_CI_CI: ; @bluestein_single_fwd_len1078_dim1_sp_op_CI_CI
; %bb.0:
	s_load_b128 s[12:15], s[0:1], 0x28
	v_mul_u32_u24_e32 v1, 0x354, v0
	s_mov_b32 s2, exec_lo
	s_delay_alu instid0(VALU_DEP_1) | instskip(NEXT) | instid1(VALU_DEP_1)
	v_lshrrev_b32_e32 v1, 16, v1
	v_mad_co_u64_u32 v[146:147], null, ttmp9, 3, v[1:2]
	v_mov_b32_e32 v147, 0
                                        ; kill: def $vgpr2 killed $sgpr0 killed $exec
	s_wait_kmcnt 0x0
	s_delay_alu instid0(VALU_DEP_1)
	v_cmpx_gt_u64_e64 s[12:13], v[146:147]
	s_cbranch_execz .LBB0_10
; %bb.1:
	s_clause 0x1
	s_load_b128 s[4:7], s[0:1], 0x18
	s_load_b128 s[8:11], s[0:1], 0x0
	v_mul_lo_u16 v1, 0x4d, v1
	s_movk_i32 s2, 0xf190
	s_mov_b32 s3, -1
	s_load_b64 s[0:1], s[0:1], 0x38
                                        ; implicit-def: $vgpr66
                                        ; implicit-def: $vgpr78
                                        ; implicit-def: $vgpr84
                                        ; implicit-def: $vgpr76
                                        ; implicit-def: $vgpr72
	s_delay_alu instid0(VALU_DEP_1) | instskip(NEXT) | instid1(VALU_DEP_1)
	v_sub_nc_u16 v0, v0, v1
	v_and_b32_e32 v163, 0xffff, v0
	v_lshlrev_b16 v38, 1, v0
	s_wait_kmcnt 0x0
	s_load_b128 s[16:19], s[4:5], 0x0
	s_wait_kmcnt 0x0
	v_mad_co_u64_u32 v[1:2], null, s18, v146, 0
	v_mad_co_u64_u32 v[3:4], null, s16, v163, 0
	s_mul_u64 s[4:5], s[16:17], 0x10d8
	s_mul_u64 s[2:3], s[16:17], s[2:3]
	s_delay_alu instid0(VALU_DEP_1) | instskip(NEXT) | instid1(VALU_DEP_1)
	v_mad_co_u64_u32 v[5:6], null, s19, v146, v[2:3]
	v_mov_b32_e32 v2, v5
	s_delay_alu instid0(VALU_DEP_3) | instskip(SKIP_1) | instid1(VALU_DEP_3)
	v_mad_co_u64_u32 v[6:7], null, s17, v163, v[4:5]
	v_lshlrev_b32_e32 v37, 3, v163
	v_lshlrev_b64_e32 v[1:2], 3, v[1:2]
	s_delay_alu instid0(VALU_DEP_3)
	v_mov_b32_e32 v4, v6
	global_load_b64 v[155:156], v37, s[8:9] offset:4312
	v_add_co_u32 v1, vcc_lo, s14, v1
	v_add_co_ci_u32_e32 v2, vcc_lo, s15, v2, vcc_lo
	v_lshlrev_b64_e32 v[3:4], 3, v[3:4]
	s_clause 0xa
	global_load_b64 v[159:160], v37, s[8:9]
	global_load_b64 v[157:158], v37, s[8:9] offset:616
	global_load_b64 v[140:141], v37, s[8:9] offset:1232
	;; [unrolled: 1-line block ×10, first 2 shown]
	v_add_co_u32 v1, vcc_lo, v1, v3
	s_wait_alu 0xfffd
	v_add_co_ci_u32_e32 v2, vcc_lo, v2, v4, vcc_lo
	s_delay_alu instid0(VALU_DEP_2) | instskip(SKIP_1) | instid1(VALU_DEP_2)
	v_add_co_u32 v3, vcc_lo, v1, s4
	s_wait_alu 0xfffd
	v_add_co_ci_u32_e32 v4, vcc_lo, s5, v2, vcc_lo
	global_load_b64 v[9:10], v[1:2], off
	v_add_co_u32 v5, vcc_lo, v3, s2
	s_wait_alu 0xfffd
	v_add_co_ci_u32_e32 v6, vcc_lo, s3, v4, vcc_lo
	s_delay_alu instid0(VALU_DEP_2) | instskip(SKIP_1) | instid1(VALU_DEP_2)
	v_add_co_u32 v7, vcc_lo, v5, s4
	s_wait_alu 0xfffd
	v_add_co_ci_u32_e32 v8, vcc_lo, s5, v6, vcc_lo
	s_delay_alu instid0(VALU_DEP_2) | instskip(SKIP_1) | instid1(VALU_DEP_2)
	v_add_co_u32 v1, vcc_lo, v7, s2
	s_wait_alu 0xfffd
	v_add_co_ci_u32_e32 v2, vcc_lo, s3, v8, vcc_lo
	s_clause 0x2
	global_load_b64 v[11:12], v[3:4], off
	global_load_b64 v[4:5], v[5:6], off
	;; [unrolled: 1-line block ×3, first 2 shown]
	v_add_co_u32 v13, vcc_lo, v1, s4
	s_wait_alu 0xfffd
	v_add_co_ci_u32_e32 v14, vcc_lo, s5, v2, vcc_lo
	global_load_b64 v[15:16], v[1:2], off
	v_add_co_u32 v1, vcc_lo, v13, s2
	s_wait_alu 0xfffd
	v_add_co_ci_u32_e32 v2, vcc_lo, s3, v14, vcc_lo
	global_load_b64 v[13:14], v[13:14], off
	;; [unrolled: 4-line block ×8, first 2 shown]
	v_add_co_u32 v29, vcc_lo, v1, s4
	s_wait_alu 0xfffd
	v_add_co_ci_u32_e32 v30, vcc_lo, s5, v2, vcc_lo
	global_load_b64 v[147:148], v37, s[8:9] offset:3696
	global_load_b64 v[31:32], v[1:2], off
	global_load_b64 v[151:152], v37, s[8:9] offset:8008
	global_load_b64 v[29:30], v[29:30], off
	v_mul_hi_u32 v1, 0xaaaaaaab, v146
	s_load_b128 s[4:7], s[6:7], 0x0
	v_add_co_u32 v88, s2, 0x4d, v163
	v_cmp_gt_u16_e32 vcc_lo, 21, v0
	s_delay_alu instid0(VALU_DEP_3) | instskip(NEXT) | instid1(VALU_DEP_1)
	v_lshrrev_b32_e32 v1, 1, v1
	v_lshl_add_u32 v1, v1, 1, v1
	s_delay_alu instid0(VALU_DEP_1) | instskip(NEXT) | instid1(VALU_DEP_1)
	v_sub_nc_u32_e32 v1, v146, v1
	v_mul_u32_u24_e32 v1, 0x436, v1
	s_wait_loadcnt 0xf
	s_delay_alu instid0(VALU_DEP_1) | instskip(NEXT) | instid1(VALU_DEP_1)
	v_dual_mul_f32 v8, v10, v160 :: v_dual_lshlrev_b32 v165, 3, v1
	v_add_nc_u32_e32 v164, v37, v165
	v_mul_f32_e32 v34, v9, v160
	v_lshl_add_u32 v113, v88, 4, v165
	v_lshl_add_u32 v89, v163, 4, v165
	s_wait_loadcnt 0xe
	v_dual_fmac_f32 v8, v9, v159 :: v_dual_mul_f32 v33, v12, v156
	s_wait_loadcnt 0xd
	v_dual_mul_f32 v39, v4, v158 :: v_dual_add_nc_u32 v2, 0x1000, v164
	v_dual_mul_f32 v35, v5, v158 :: v_dual_mul_f32 v36, v11, v156
	v_add_nc_u32_e32 v1, 0x1800, v164
	v_fma_f32 v9, v10, v159, -v34
	v_fmac_f32_e32 v33, v11, v155
	s_delay_alu instid0(VALU_DEP_4)
	v_dual_fmac_f32 v35, v4, v157 :: v_dual_add_nc_u32 v4, 0xc00, v164
	v_fma_f32 v34, v12, v155, -v36
	v_fma_f32 v36, v5, v157, -v39
	s_wait_loadcnt 0xc
	v_dual_mul_f32 v10, v6, v154 :: v_dual_add_nc_u32 v3, 0x800, v164
	v_mul_f32_e32 v5, v7, v154
	ds_store_b64 v164, v[33:34] offset:4312
	ds_store_2addr_b64 v164, v[8:9], v[35:36] offset1:77
	s_wait_loadcnt 0xa
	v_dual_mul_f32 v8, v14, v150 :: v_dual_mul_f32 v11, v15, v141
	v_mul_f32_e32 v9, v13, v150
	v_fmac_f32_e32 v5, v6, v153
	v_fma_f32 v6, v7, v153, -v10
	v_mul_f32_e32 v10, v16, v141
	s_wait_loadcnt 0x9
	v_mul_f32_e32 v7, v20, v133
	v_fmac_f32_e32 v8, v13, v149
	v_mul_f32_e32 v13, v19, v133
	v_fma_f32 v11, v16, v140, -v11
	s_wait_loadcnt 0x7
	v_mul_f32_e32 v12, v24, v145
	v_fma_f32 v9, v14, v149, -v9
	v_fmac_f32_e32 v10, v15, v140
	v_fmac_f32_e32 v7, v19, v132
	s_wait_alu 0xf1ff
	v_add_co_ci_u32_e64 v34, null, 0, 0, s2
	s_wait_loadcnt 0x6
	v_mul_f32_e32 v14, v22, v139
	ds_store_2addr_b64 v2, v[5:6], v[8:9] offset0:104 offset1:181
	v_mul_f32_e32 v9, v23, v145
	v_dual_mul_f32 v5, v18, v135 :: v_dual_fmac_f32 v12, v23, v144
	v_fma_f32 v8, v20, v132, -v13
	s_wait_loadcnt 0x5
	v_mul_f32_e32 v16, v28, v143
	v_fma_f32 v13, v24, v144, -v9
	v_mul_f32_e32 v9, v21, v139
	v_mul_f32_e32 v6, v17, v135
	v_fmac_f32_e32 v5, v17, v134
	v_dual_mul_f32 v17, v27, v143 :: v_dual_fmac_f32 v14, v21, v138
	v_fmac_f32_e32 v16, v27, v142
	v_fma_f32 v15, v22, v138, -v9
	s_wait_loadcnt 0x2
	v_dual_mul_f32 v9, v25, v137 :: v_dual_mul_f32 v20, v32, v148
	s_wait_loadcnt 0x0
	v_mul_f32_e32 v22, v30, v152
	v_mul_f32_e32 v21, v31, v148
	v_fma_f32 v6, v18, v134, -v6
	v_dual_mul_f32 v18, v26, v137 :: v_dual_mul_f32 v23, v29, v152
	v_fmac_f32_e32 v20, v31, v147
	v_fma_f32 v17, v28, v142, -v17
	v_fmac_f32_e32 v22, v29, v151
	v_fma_f32 v21, v32, v147, -v21
	v_dual_fmac_f32 v18, v25, v136 :: v_dual_and_b32 v33, 0xffff, v38
	v_fma_f32 v19, v26, v136, -v9
	v_fma_f32 v23, v30, v151, -v23
	ds_store_2addr_b64 v164, v[10:11], v[7:8] offset0:154 offset1:231
	ds_store_2addr_b64 v1, v[5:6], v[14:15] offset0:2 offset1:79
	;; [unrolled: 1-line block ×3, first 2 shown]
	ds_store_b64 v164, v[20:21] offset:3696
	ds_store_2addr_b64 v1, v[18:19], v[22:23] offset0:156 offset1:233
	global_wb scope:SCOPE_SE
	s_wait_dscnt 0x0
	s_wait_kmcnt 0x0
	s_barrier_signal -1
	s_barrier_wait -1
	global_inv scope:SCOPE_SE
	ds_load_2addr_b64 v[5:8], v164 offset1:77
	ds_load_2addr_b64 v[9:12], v4 offset0:78 offset1:155
	ds_load_2addr_b64 v[13:16], v2 offset0:104 offset1:181
	;; [unrolled: 1-line block ×6, first 2 shown]
	v_lshl_add_u32 v112, v33, 3, v165
	v_add_nc_u32_e32 v35, 0x400, v164
	global_wb scope:SCOPE_SE
	s_wait_dscnt 0x0
	s_barrier_signal -1
	s_barrier_wait -1
	global_inv scope:SCOPE_SE
	v_add_co_u32 v104, s2, s8, v37
	s_wait_alu 0xf1ff
	v_add_co_ci_u32_e64 v105, null, s9, 0, s2
	v_dual_sub_f32 v33, v5, v11 :: v_dual_sub_f32 v14, v8, v14
	v_dual_sub_f32 v34, v6, v12 :: v_dual_sub_f32 v13, v7, v13
	;; [unrolled: 1-line block ×7, first 2 shown]
	v_fma_f32 v31, v5, 2.0, -v33
	v_fma_f32 v32, v6, 2.0, -v34
	;; [unrolled: 1-line block ×14, first 2 shown]
	ds_store_b128 v112, v[31:34]
	ds_store_b128 v113, v[11:14]
	ds_store_b128 v89, v[42:45] offset:2464
	ds_store_b128 v89, v[19:22] offset:3696
	;; [unrolled: 1-line block ×5, first 2 shown]
	global_wb scope:SCOPE_SE
	s_wait_dscnt 0x0
	s_barrier_signal -1
	s_barrier_wait -1
	global_inv scope:SCOPE_SE
	ds_load_2addr_b64 v[42:45], v164 offset1:98
	ds_load_2addr_b64 v[58:61], v35 offset0:68 offset1:166
	ds_load_2addr_b64 v[54:57], v3 offset0:136 offset1:234
	;; [unrolled: 1-line block ×4, first 2 shown]
	ds_load_b64 v[82:83], v164 offset:7840
	s_and_saveexec_b32 s2, vcc_lo
	s_cbranch_execz .LBB0_3
; %bb.2:
	ds_load_2addr_b64 v[70:73], v3 offset0:17 offset1:115
	ds_load_2addr_b64 v[5:8], v164 offset0:77 offset1:175
	;; [unrolled: 1-line block ×5, first 2 shown]
	ds_load_b64 v[84:85], v164 offset:8456
	s_wait_dscnt 0x5
	v_dual_mov_b32 v64, v70 :: v_dual_mov_b32 v65, v71
	s_wait_dscnt 0x4
	v_dual_mov_b32 v62, v7 :: v_dual_mov_b32 v63, v8
	v_dual_mov_b32 v40, v5 :: v_dual_mov_b32 v41, v6
.LBB0_3:
	s_wait_alu 0xfffe
	s_or_b32 exec_lo, exec_lo, s2
	v_and_b32_e32 v70, 1, v163
	s_delay_alu instid0(VALU_DEP_1) | instskip(NEXT) | instid1(VALU_DEP_1)
	v_mul_u32_u24_e32 v0, 10, v70
	v_lshlrev_b32_e32 v0, 3, v0
	s_clause 0x1
	global_load_b128 v[32:35], v0, s[10:11]
	global_load_b128 v[24:27], v0, s[10:11] offset:16
	s_wait_loadcnt_dscnt 0x104
	v_dual_mul_f32 v109, v59, v35 :: v_dual_and_b32 v166, 1, v88
	s_wait_loadcnt 0x0
	v_mul_f32_e32 v107, v60, v25
	s_delay_alu instid0(VALU_DEP_2)
	v_mul_u32_u24_e32 v1, 10, v166
	s_clause 0x1
	global_load_b128 v[36:39], v0, s[10:11] offset:32
	global_load_b128 v[28:31], v0, s[10:11] offset:48
	s_wait_dscnt 0x3
	v_dual_mul_f32 v106, v45, v33 :: v_dual_mul_f32 v103, v54, v27
	v_lshlrev_b32_e32 v16, 3, v1
	v_mul_f32_e32 v110, v44, v33
	v_mul_f32_e32 v114, v55, v27
	s_clause 0x5
	global_load_b128 v[20:23], v0, s[10:11] offset:64
	global_load_b128 v[12:15], v16, s[10:11]
	global_load_b128 v[8:11], v16, s[10:11] offset:16
	global_load_b128 v[0:3], v16, s[10:11] offset:32
	global_load_b128 v[4:7], v16, s[10:11] offset:48
	global_load_b128 v[16:19], v16, s[10:11] offset:64
	v_dual_mul_f32 v108, v58, v35 :: v_dual_mul_f32 v111, v61, v25
	v_fma_f32 v109, v58, v34, -v109
	global_wb scope:SCOPE_SE
	s_wait_loadcnt_dscnt 0x0
	s_barrier_signal -1
	s_barrier_wait -1
	global_inv scope:SCOPE_SE
	v_fmac_f32_e32 v107, v61, v24
	v_fmac_f32_e32 v103, v55, v26
	v_mul_f32_e32 v115, v57, v37
	v_mul_f32_e32 v102, v56, v37
	v_dual_mul_f32 v116, v51, v39 :: v_dual_mul_f32 v119, v49, v21
	v_dual_mul_f32 v120, v83, v23 :: v_dual_mul_f32 v123, v73, v9
	v_mul_f32_e32 v71, v82, v23
	v_mul_f32_e32 v101, v50, v39
	;; [unrolled: 1-line block ×4, first 2 shown]
	v_dual_mul_f32 v118, v47, v31 :: v_dual_mul_f32 v99, v62, v13
	v_dual_mul_f32 v87, v46, v31 :: v_dual_mul_f32 v86, v48, v21
	;; [unrolled: 1-line block ×3, first 2 shown]
	v_dual_mul_f32 v130, v85, v19 :: v_dual_fmac_f32 v71, v83, v22
	v_dual_mul_f32 v91, v84, v19 :: v_dual_fmac_f32 v110, v45, v32
	v_fma_f32 v131, v44, v32, -v106
	v_fma_f32 v58, v54, v26, -v114
	;; [unrolled: 1-line block ×3, first 2 shown]
	v_dual_mul_f32 v98, v64, v15 :: v_dual_mul_f32 v125, v77, v1
	v_dual_mul_f32 v97, v72, v9 :: v_dual_mul_f32 v124, v75, v11
	;; [unrolled: 1-line block ×5, first 2 shown]
	v_dual_mul_f32 v92, v78, v7 :: v_dual_fmac_f32 v101, v51, v38
	v_dual_mul_f32 v90, v80, v17 :: v_dual_fmac_f32 v87, v47, v30
	v_dual_fmac_f32 v108, v59, v34 :: v_dual_fmac_f32 v97, v73, v8
	v_fma_f32 v59, v60, v24, -v111
	v_fma_f32 v55, v56, v36, -v115
	v_fmac_f32_e32 v102, v57, v36
	v_fma_f32 v50, v50, v38, -v116
	v_fma_f32 v45, v52, v28, -v117
	v_dual_fmac_f32 v100, v53, v28 :: v_dual_add_f32 v47, v110, v71
	v_fma_f32 v44, v46, v30, -v118
	v_fma_f32 v51, v48, v20, -v119
	v_dual_fmac_f32 v86, v49, v20 :: v_dual_sub_f32 v57, v110, v71
	v_fma_f32 v106, v62, v12, -v121
	v_dual_fmac_f32 v99, v63, v12 :: v_dual_fmac_f32 v98, v65, v14
	v_fma_f32 v60, v84, v18, -v130
	v_dual_fmac_f32 v91, v85, v18 :: v_dual_add_f32 v52, v42, v131
	v_add_f32_e32 v53, v43, v110
	v_dual_sub_f32 v56, v131, v54 :: v_dual_sub_f32 v85, v102, v101
	v_dual_mul_f32 v94, v66, v3 :: v_dual_mul_f32 v93, v68, v5
	v_fma_f32 v83, v64, v14, -v122
	v_fma_f32 v82, v72, v8, -v123
	v_dual_fmac_f32 v96, v75, v10 :: v_dual_fmac_f32 v95, v77, v0
	v_fma_f32 v73, v76, v0, -v125
	v_fma_f32 v72, v66, v2, -v126
	;; [unrolled: 1-line block ×3, first 2 shown]
	v_dual_fmac_f32 v92, v79, v6 :: v_dual_add_f32 v49, v109, v51
	v_dual_fmac_f32 v90, v81, v16 :: v_dual_sub_f32 v65, v108, v86
	v_dual_add_f32 v46, v131, v54 :: v_dual_sub_f32 v81, v58, v45
	v_add_f32_e32 v48, v108, v86
	v_dual_sub_f32 v64, v109, v51 :: v_dual_sub_f32 v75, v59, v44
	v_dual_add_f32 v66, v59, v44 :: v_dual_mul_f32 v115, 0xbf68dda4, v57
	v_dual_sub_f32 v76, v107, v87 :: v_dual_add_f32 v77, v106, v60
	v_sub_f32_e32 v79, v103, v100
	v_dual_add_f32 v84, v103, v100 :: v_dual_mul_f32 v117, 0xbf7d64f0, v57
	v_dual_add_f32 v110, v55, v50 :: v_dual_add_f32 v53, v53, v108
	v_dual_sub_f32 v111, v55, v50 :: v_dual_add_f32 v114, v102, v101
	v_add_f32_e32 v78, v99, v91
	v_add_f32_e32 v52, v52, v109
	s_delay_alu instid0(VALU_DEP_4)
	v_dual_mul_f32 v108, 0xbf0a6770, v57 :: v_dual_add_f32 v53, v53, v107
	v_mul_f32_e32 v109, 0xbf0a6770, v56
	v_dual_mul_f32 v116, 0xbf68dda4, v56 :: v_dual_mul_f32 v121, 0xbf68dda4, v65
	v_mul_f32_e32 v118, 0xbf7d64f0, v56
	v_dual_mul_f32 v119, 0xbf4178ce, v57 :: v_dual_mul_f32 v120, 0xbf4178ce, v56
	v_fma_f32 v74, v74, v10, -v124
	v_dual_fmac_f32 v94, v67, v2 :: v_dual_fmac_f32 v93, v69, v4
	v_fma_f32 v63, v68, v4, -v127
	v_fma_f32 v61, v80, v16, -v129
	v_dual_add_f32 v67, v107, v87 :: v_dual_add_f32 v80, v58, v45
	v_dual_sub_f32 v69, v99, v91 :: v_dual_sub_f32 v68, v106, v60
	v_dual_mul_f32 v57, 0xbe903f40, v57 :: v_dual_mul_f32 v56, 0xbe903f40, v56
	v_mul_f32_e32 v122, 0xbf68dda4, v64
	v_dual_mul_f32 v123, 0xbf4178ce, v65 :: v_dual_mul_f32 v124, 0xbf4178ce, v64
	v_dual_mul_f32 v125, 0x3e903f40, v65 :: v_dual_mul_f32 v126, 0x3e903f40, v64
	;; [unrolled: 1-line block ×4, first 2 shown]
	v_mul_f32_e32 v129, 0xbf7d64f0, v76
	v_dual_mul_f32 v131, 0x3e903f40, v76 :: v_dual_mul_f32 v168, 0x3e903f40, v75
	v_dual_mul_f32 v161, 0x3f68dda4, v76 :: v_dual_mul_f32 v176, 0x3f68dda4, v79
	;; [unrolled: 1-line block ×5, first 2 shown]
	v_mul_f32_e32 v170, 0xbf0a6770, v75
	v_dual_mul_f32 v173, 0x3f7d64f0, v79 :: v_dual_mul_f32 v178, 0x3f7d64f0, v81
	v_dual_mul_f32 v175, 0xbe903f40, v79 :: v_dual_mul_f32 v180, 0xbe903f40, v81
	v_dual_mul_f32 v177, 0xbf4178ce, v81 :: v_dual_add_f32 v52, v52, v59
	v_dual_mul_f32 v81, 0x3f68dda4, v81 :: v_dual_mul_f32 v188, 0x3f68dda4, v111
	v_fma_f32 v59, 0x3f575c64, v46, -v108
	v_mul_f32_e32 v182, 0x3f0a6770, v85
	v_dual_fmamk_f32 v107, v47, 0x3f575c64, v109 :: v_dual_fmac_f32 v108, 0x3f575c64, v46
	v_mul_f32_e32 v171, 0xbf4178ce, v75
	v_fma_f32 v109, 0x3f575c64, v47, -v109
	v_mul_f32_e32 v130, 0xbf7d64f0, v75
	v_fma_f32 v189, 0x3ed4b147, v46, -v115
	v_mul_f32_e32 v185, 0xbe903f40, v111
	v_dual_fmamk_f32 v190, v47, 0x3ed4b147, v116 :: v_dual_fmac_f32 v115, 0x3ed4b147, v46
	v_mul_f32_e32 v174, 0xbf0a6770, v79
	v_fma_f32 v116, 0x3ed4b147, v47, -v116
	v_mul_f32_e32 v181, 0xbe903f40, v85
	v_fma_f32 v191, 0xbe11bafb, v46, -v117
	v_mul_f32_e32 v183, 0xbf4178ce, v85
	v_mul_f32_e32 v85, 0xbf7d64f0, v85
	v_dual_fmamk_f32 v192, v47, 0xbe11bafb, v118 :: v_dual_fmac_f32 v117, 0xbe11bafb, v46
	v_mul_f32_e32 v186, 0x3f0a6770, v111
	v_fma_f32 v118, 0xbe11bafb, v47, -v118
	v_mul_f32_e32 v187, 0xbf4178ce, v111
	v_fma_f32 v193, 0xbf27a4f4, v46, -v119
	v_mul_f32_e32 v111, 0xbf7d64f0, v111
	v_dual_fmamk_f32 v194, v47, 0xbf27a4f4, v120 :: v_dual_fmac_f32 v119, 0xbf27a4f4, v46
	v_dual_mul_f32 v75, 0xbf0a6770, v69 :: v_dual_mul_f32 v76, 0xbf0a6770, v68
	v_add_f32_e32 v107, v43, v107
	v_mul_f32_e32 v79, 0xbf68dda4, v69
	v_fma_f32 v120, 0xbf27a4f4, v47, -v120
	v_fma_f32 v195, 0xbf75a155, v46, -v57
	v_dual_fmamk_f32 v196, v47, 0xbf75a155, v56 :: v_dual_fmac_f32 v57, 0xbf75a155, v46
	v_fma_f32 v46, 0xbf75a155, v47, -v56
	v_fma_f32 v47, 0x3ed4b147, v49, -v121
	v_dual_fmamk_f32 v56, v48, 0x3ed4b147, v122 :: v_dual_fmac_f32 v121, 0x3ed4b147, v49
	;; [unrolled: 3-line block ×5, first 2 shown]
	v_fma_f32 v128, 0xbe11bafb, v48, -v128
	v_fma_f32 v203, 0x3f575c64, v49, -v65
	v_fmac_f32_e32 v65, 0x3f575c64, v49
	v_dual_fmamk_f32 v49, v48, 0x3f575c64, v64 :: v_dual_add_f32 v120, v43, v120
	v_fma_f32 v48, 0x3f575c64, v48, -v64
	v_fma_f32 v64, 0xbe11bafb, v66, -v129
	;; [unrolled: 1-line block ×3, first 2 shown]
	v_dual_fmac_f32 v131, 0xbf75a155, v66 :: v_dual_fmamk_f32 v208, v67, 0xbf75a155, v168
	v_fma_f32 v205, 0x3ed4b147, v66, -v161
	v_fmac_f32_e32 v161, 0x3ed4b147, v66
	v_fma_f32 v206, 0x3f575c64, v66, -v162
	v_fmac_f32_e32 v162, 0x3f575c64, v66
	;; [unrolled: 2-line block ×3, first 2 shown]
	v_fma_f32 v168, 0xbf75a155, v67, -v168
	v_fmamk_f32 v209, v67, 0x3ed4b147, v169
	v_fma_f32 v169, 0x3ed4b147, v67, -v169
	v_dual_fmamk_f32 v210, v67, 0x3f575c64, v170 :: v_dual_fmamk_f32 v217, v84, 0x3f575c64, v179
	v_fma_f32 v170, 0x3f575c64, v67, -v170
	v_fma_f32 v212, 0xbe11bafb, v80, -v173
	v_dual_fmac_f32 v173, 0xbe11bafb, v80 :: v_dual_fmamk_f32 v216, v84, 0xbe11bafb, v178
	v_fma_f32 v213, 0x3f575c64, v80, -v174
	v_dual_fmac_f32 v174, 0x3f575c64, v80 :: v_dual_add_f32 v115, v42, v115
	v_fma_f32 v214, 0xbf75a155, v80, -v175
	v_dual_fmac_f32 v175, 0xbf75a155, v80 :: v_dual_fmamk_f32 v218, v84, 0xbf75a155, v180
	v_fma_f32 v215, 0x3ed4b147, v80, -v176
	v_fmac_f32_e32 v176, 0x3ed4b147, v80
	v_fma_f32 v178, 0xbe11bafb, v84, -v178
	v_fma_f32 v179, 0x3f575c64, v84, -v179
	;; [unrolled: 1-line block ×3, first 2 shown]
	v_dual_fmamk_f32 v219, v84, 0x3ed4b147, v81 :: v_dual_fmamk_f32 v226, v114, 0x3ed4b147, v188
	v_fma_f32 v81, 0x3ed4b147, v84, -v81
	v_fma_f32 v221, 0xbf27a4f4, v110, -v183
	v_fmac_f32_e32 v183, 0xbf27a4f4, v110
	v_fma_f32 v222, 0x3ed4b147, v110, -v184
	v_fmac_f32_e32 v184, 0x3ed4b147, v110
	v_fma_f32 v223, 0xbe11bafb, v110, -v85
	v_dual_fmamk_f32 v224, v114, 0x3f575c64, v186 :: v_dual_add_f32 v53, v53, v103
	v_fma_f32 v186, 0x3f575c64, v114, -v186
	v_fma_f32 v188, 0x3ed4b147, v114, -v188
	v_fmamk_f32 v227, v114, 0xbe11bafb, v111
	v_fma_f32 v111, 0xbe11bafb, v114, -v111
	v_add_f32_e32 v59, v42, v59
	v_fma_f32 v220, 0x3f575c64, v110, -v182
	v_dual_fmac_f32 v182, 0x3f575c64, v110 :: v_dual_add_f32 v119, v42, v119
	v_dual_add_f32 v108, v42, v108 :: v_dual_fmamk_f32 v211, v67, 0xbf27a4f4, v171
	v_add_f32_e32 v109, v43, v109
	v_dual_fmac_f32 v129, 0xbe11bafb, v66 :: v_dual_fmamk_f32 v66, v67, 0xbe11bafb, v130
	v_fma_f32 v130, 0xbe11bafb, v67, -v130
	v_fma_f32 v67, 0xbf27a4f4, v67, -v171
	;; [unrolled: 1-line block ×3, first 2 shown]
	v_fmac_f32_e32 v172, 0xbf27a4f4, v80
	v_dual_fmamk_f32 v80, v84, 0xbf27a4f4, v177 :: v_dual_add_f32 v117, v42, v117
	v_fma_f32 v177, 0xbf27a4f4, v84, -v177
	v_add_f32_e32 v116, v43, v116
	v_fma_f32 v84, 0xbf75a155, v110, -v181
	v_fmac_f32_e32 v181, 0xbf75a155, v110
	v_dual_add_f32 v118, v43, v118 :: v_dual_fmamk_f32 v225, v114, 0xbf27a4f4, v187
	v_add_f32_e32 v52, v52, v58
	v_fmac_f32_e32 v85, 0xbe11bafb, v110
	v_fmamk_f32 v110, v114, 0xbf75a155, v185
	v_fma_f32 v185, 0xbf75a155, v114, -v185
	v_fma_f32 v187, 0xbf27a4f4, v114, -v187
	v_dual_add_f32 v114, v42, v189 :: v_dual_add_f32 v189, v43, v190
	v_dual_add_f32 v190, v42, v191 :: v_dual_add_f32 v191, v43, v192
	;; [unrolled: 1-line block ×3, first 2 shown]
	v_add_f32_e32 v194, v42, v195
	v_add_f32_e32 v58, v43, v196
	v_dual_add_f32 v42, v42, v57 :: v_dual_add_f32 v43, v43, v46
	v_add_f32_e32 v46, v52, v55
	v_dual_add_f32 v52, v53, v102 :: v_dual_add_f32 v47, v47, v59
	v_add_f32_e32 v53, v56, v107
	v_dual_add_f32 v55, v121, v108 :: v_dual_add_f32 v102, v123, v115
	v_dual_add_f32 v56, v122, v109 :: v_dual_add_f32 v57, v197, v114
	v_add_f32_e32 v108, v200, v191
	v_dual_add_f32 v103, v124, v116 :: v_dual_add_f32 v42, v65, v42
	v_dual_add_f32 v116, v202, v193 :: v_dual_add_f32 v115, v201, v192
	v_add_f32_e32 v59, v198, v189
	v_add_f32_e32 v107, v199, v190
	v_dual_add_f32 v109, v125, v117 :: v_dual_add_f32 v46, v46, v50
	v_dual_add_f32 v114, v126, v118 :: v_dual_add_f32 v117, v127, v119
	;; [unrolled: 1-line block ×3, first 2 shown]
	v_add_f32_e32 v43, v48, v43
	v_add_f32_e32 v48, v52, v101
	v_dual_add_f32 v47, v64, v47 :: v_dual_add_f32 v50, v66, v53
	v_dual_add_f32 v52, v129, v55 :: v_dual_add_f32 v53, v130, v56
	v_add_f32_e32 v55, v204, v57
	v_add_f32_e32 v57, v131, v102
	;; [unrolled: 1-line block ×3, first 2 shown]
	v_dual_add_f32 v102, v210, v116 :: v_dual_add_f32 v49, v49, v58
	v_add_f32_e32 v56, v208, v59
	v_add_f32_e32 v58, v168, v103
	v_dual_add_f32 v59, v205, v107 :: v_dual_add_f32 v42, v167, v42
	v_add_f32_e32 v64, v209, v108
	v_add_f32_e32 v65, v161, v109
	v_dual_add_f32 v66, v169, v114 :: v_dual_add_f32 v103, v162, v117
	v_dual_add_f32 v107, v170, v118 :: v_dual_add_f32 v108, v207, v119
	s_delay_alu instid0(VALU_DEP_2)
	v_dual_add_f32 v45, v46, v45 :: v_dual_add_f32 v66, v179, v66
	v_dual_add_f32 v46, v48, v100 :: v_dual_add_f32 v47, v171, v47
	v_add_f32_e32 v102, v218, v102
	v_add_f32_e32 v48, v80, v50
	;; [unrolled: 1-line block ×3, first 2 shown]
	v_dual_add_f32 v52, v177, v53 :: v_dual_add_f32 v53, v212, v55
	v_dual_add_f32 v108, v215, v108 :: v_dual_add_f32 v101, v214, v101
	;; [unrolled: 1-line block ×3, first 2 shown]
	v_add_f32_e32 v55, v216, v56
	s_delay_alu instid0(VALU_DEP_4)
	v_dual_add_f32 v59, v213, v59 :: v_dual_add_f32 v56, v220, v53
	v_add_f32_e32 v80, v217, v64
	v_add_f32_e32 v64, v84, v47
	;; [unrolled: 1-line block ×4, first 2 shown]
	v_dual_add_f32 v48, v222, v101 :: v_dual_add_f32 v115, v45, v44
	v_dual_add_f32 v49, v211, v49 :: v_dual_add_f32 v58, v178, v58
	;; [unrolled: 1-line block ×4, first 2 shown]
	v_add_f32_e32 v50, v184, v103
	v_dual_add_f32 v55, v115, v51 :: v_dual_add_f32 v110, v98, v90
	v_add_f32_e32 v87, v46, v87
	v_dual_add_f32 v109, v219, v49 :: v_dual_add_f32 v44, v182, v67
	v_add_f32_e32 v81, v81, v43
	v_add_f32_e32 v43, v185, v52
	v_dual_add_f32 v45, v186, v58 :: v_dual_add_f32 v58, v221, v59
	v_add_f32_e32 v47, v187, v66
	v_add_f32_e32 v66, v55, v54
	v_dual_add_f32 v67, v87, v86 :: v_dual_add_f32 v122, v97, v92
	v_dual_sub_f32 v86, v98, v90 :: v_dual_add_f32 v59, v225, v80
	v_fma_f32 v80, 0x3f575c64, v78, -v76
	v_dual_add_f32 v107, v180, v107 :: v_dual_add_f32 v46, v183, v100
	v_dual_add_f32 v49, v226, v102 :: v_dual_sub_f32 v100, v83, v61
	v_add_f32_e32 v52, v223, v108
	v_dual_add_f32 v67, v67, v71 :: v_dual_sub_f32 v116, v82, v62
	v_add_f32_e32 v55, v111, v81
	v_fmamk_f32 v81, v77, 0x3ed4b147, v79
	v_add_f32_e32 v84, v41, v80
	v_fmamk_f32 v71, v77, 0x3f575c64, v75
	v_dual_add_f32 v111, v83, v61 :: v_dual_mul_f32 v80, 0xbf68dda4, v86
	v_add_f32_e32 v127, v74, v63
	v_sub_f32_e32 v115, v97, v92
	v_dual_add_f32 v51, v188, v107 :: v_dual_mul_f32 v118, 0xbf4178ce, v86
	v_dual_add_f32 v54, v85, v114 :: v_dual_add_f32 v85, v40, v81
	v_dual_fmamk_f32 v103, v111, 0x3ed4b147, v80 :: v_dual_add_f32 v168, v73, v72
	v_dual_mul_f32 v81, 0xbf68dda4, v100 :: v_dual_sub_f32 v172, v95, v94
	v_mul_f32_e32 v107, 0xbf7d64f0, v115
	v_sub_f32_e32 v167, v74, v63
	v_add_f32_e32 v123, v82, v62
	v_dual_add_f32 v71, v40, v71 :: v_dual_mul_f32 v108, 0xbf7d64f0, v116
	v_sub_f32_e32 v173, v73, v72
	v_mul_f32_e32 v114, 0xbf7d64f0, v68
	s_delay_alu instid0(VALU_DEP_4) | instskip(NEXT) | instid1(VALU_DEP_4)
	v_fmamk_f32 v120, v123, 0xbe11bafb, v107
	v_add_f32_e32 v71, v103, v71
	v_fma_f32 v103, 0x3ed4b147, v110, -v81
	v_dual_add_f32 v126, v96, v93 :: v_dual_mul_f32 v179, 0xbf0a6770, v167
	v_mul_f32_e32 v125, 0x3e903f40, v116
	s_delay_alu instid0(VALU_DEP_3) | instskip(SKIP_2) | instid1(VALU_DEP_4)
	v_dual_add_f32 v71, v120, v71 :: v_dual_add_f32 v84, v103, v84
	v_fma_f32 v103, 0xbe11bafb, v122, -v108
	v_mul_f32_e32 v120, 0x3e903f40, v115
	v_fma_f32 v129, 0xbf75a155, v122, -v125
	v_add_f32_e32 v169, v95, v94
	v_mul_f32_e32 v177, 0x3f68dda4, v116
	v_dual_add_f32 v84, v103, v84 :: v_dual_sub_f32 v103, v96, v93
	v_mul_f32_e32 v87, 0xbf7d64f0, v69
	v_fmamk_f32 v128, v123, 0xbf75a155, v120
	s_delay_alu instid0(VALU_DEP_3) | instskip(SKIP_1) | instid1(VALU_DEP_4)
	v_mul_f32_e32 v124, 0x3f7d64f0, v103
	v_fmamk_f32 v117, v111, 0xbf27a4f4, v118
	v_fma_f32 v102, 0xbe11bafb, v77, -v87
	v_add_f32_e32 v53, v227, v109
	v_mul_f32_e32 v109, 0xbf68dda4, v68
	s_delay_alu instid0(VALU_DEP_4) | instskip(NEXT) | instid1(VALU_DEP_4)
	v_add_f32_e32 v85, v117, v85
	v_dual_mul_f32 v117, 0xbf4178ce, v103 :: v_dual_add_f32 v102, v40, v102
	s_delay_alu instid0(VALU_DEP_3) | instskip(NEXT) | instid1(VALU_DEP_2)
	v_fma_f32 v101, 0x3ed4b147, v78, -v109
	v_fmamk_f32 v130, v127, 0xbf27a4f4, v117
	s_delay_alu instid0(VALU_DEP_2) | instskip(SKIP_2) | instid1(VALU_DEP_4)
	v_dual_mul_f32 v176, 0x3f68dda4, v115 :: v_dual_add_f32 v101, v41, v101
	v_mul_f32_e32 v178, 0xbf0a6770, v103
	v_mul_f32_e32 v180, 0xbe903f40, v103
	v_add_f32_e32 v71, v130, v71
	v_lshrrev_b32_e32 v130, 1, v163
	s_delay_alu instid0(VALU_DEP_1) | instskip(NEXT) | instid1(VALU_DEP_1)
	v_mul_u32_u24_e32 v130, 22, v130
	v_or_b32_e32 v70, v130, v70
	v_mul_f32_e32 v130, 0xbe903f40, v173
	s_delay_alu instid0(VALU_DEP_2)
	v_lshl_add_u32 v170, v70, 3, v165
	v_mul_f32_e32 v70, 0x3e903f40, v100
	ds_store_2addr_b64 v170, v[66:67], v[64:65] offset1:2
	v_fmamk_f32 v66, v78, 0xbe11bafb, v114
	v_mul_f32_e32 v121, 0xbf4178ce, v100
	v_dual_add_f32 v85, v128, v85 :: v_dual_mul_f32 v128, 0x3f7d64f0, v167
	v_mul_f32_e32 v65, 0x3e903f40, v86
	s_delay_alu instid0(VALU_DEP_4) | instskip(NEXT) | instid1(VALU_DEP_4)
	v_add_f32_e32 v66, v41, v66
	v_fma_f32 v119, 0xbf27a4f4, v110, -v121
	v_fmamk_f32 v175, v110, 0xbf75a155, v70
	v_fma_f32 v70, 0xbf75a155, v110, -v70
	v_fma_f32 v162, 0xbf75a155, v111, -v65
	;; [unrolled: 1-line block ×3, first 2 shown]
	v_add_f32_e32 v101, v119, v101
	v_dual_mul_f32 v119, 0xbf4178ce, v167 :: v_dual_add_f32 v66, v175, v66
	v_fmamk_f32 v175, v122, 0x3ed4b147, v177
	v_fmac_f32_e32 v65, 0xbf75a155, v111
	s_delay_alu instid0(VALU_DEP_4)
	v_add_f32_e32 v101, v129, v101
	v_fmamk_f32 v129, v127, 0xbe11bafb, v124
	v_fma_f32 v131, 0xbf27a4f4, v126, -v119
	ds_store_2addr_b64 v170, v[56:57], v[58:59] offset0:4 offset1:6
	ds_store_2addr_b64 v170, v[48:49], v[52:53] offset0:8 offset1:10
	;; [unrolled: 1-line block ×4, first 2 shown]
	ds_store_b64 v170, v[42:43] offset:160
	v_add_f32_e32 v85, v129, v85
	v_mul_f32_e32 v129, 0xbe903f40, v172
	v_add_f32_e32 v84, v131, v84
	v_fma_f32 v131, 0xbe11bafb, v126, -v128
	v_fmac_f32_e32 v87, 0xbe11bafb, v77
	s_delay_alu instid0(VALU_DEP_4) | instskip(NEXT) | instid1(VALU_DEP_2)
	v_fmamk_f32 v161, v168, 0xbf75a155, v129
	v_add_f32_e32 v87, v40, v87
	s_delay_alu instid0(VALU_DEP_2)
	v_add_f32_e32 v161, v161, v71
	v_add_f32_e32 v71, v162, v102
	v_fma_f32 v102, 0x3ed4b147, v123, -v176
	v_add_f32_e32 v162, v64, v84
	v_fma_f32 v84, 0x3f575c64, v127, -v178
	v_fmac_f32_e32 v176, 0x3ed4b147, v123
	s_delay_alu instid0(VALU_DEP_4) | instskip(SKIP_3) | instid1(VALU_DEP_4)
	v_dual_add_f32 v64, v102, v71 :: v_dual_add_f32 v71, v175, v66
	v_fmamk_f32 v102, v126, 0x3f575c64, v179
	v_mul_f32_e32 v175, 0x3f7d64f0, v100
	v_mul_f32_e32 v100, 0x3f0a6770, v100
	v_add_f32_e32 v64, v84, v64
	v_dual_fmac_f32 v178, 0x3f575c64, v127 :: v_dual_add_f32 v101, v131, v101
	v_mul_f32_e32 v131, 0x3f0a6770, v172
	v_fma_f32 v84, 0xbe11bafb, v78, -v114
	v_add_f32_e32 v71, v102, v71
	v_fma_f32 v114, 0x3ed4b147, v122, -v177
	v_mul_f32_e32 v177, 0xbf0a6770, v115
	s_delay_alu instid0(VALU_DEP_4) | instskip(NEXT) | instid1(VALU_DEP_1)
	v_dual_fmamk_f32 v67, v168, 0x3f575c64, v131 :: v_dual_add_f32 v84, v41, v84
	v_dual_mul_f32 v115, 0xbf4178ce, v115 :: v_dual_add_f32 v66, v67, v85
	v_mul_f32_e32 v85, 0xbf4178ce, v172
	s_delay_alu instid0(VALU_DEP_3) | instskip(SKIP_2) | instid1(VALU_DEP_4)
	v_dual_add_f32 v84, v70, v84 :: v_dual_mul_f32 v181, 0xbe903f40, v167
	v_add_f32_e32 v65, v65, v87
	v_mul_f32_e32 v167, 0x3f68dda4, v167
	v_fma_f32 v102, 0xbf27a4f4, v168, -v85
	v_fmac_f32_e32 v85, 0xbf27a4f4, v168
	s_delay_alu instid0(VALU_DEP_2) | instskip(SKIP_4) | instid1(VALU_DEP_4)
	v_add_f32_e32 v70, v102, v64
	v_dual_add_f32 v64, v176, v65 :: v_dual_add_f32 v65, v114, v84
	v_mul_f32_e32 v114, 0x3f7d64f0, v86
	v_mul_f32_e32 v171, 0x3f0a6770, v173
	;; [unrolled: 1-line block ×3, first 2 shown]
	v_add_f32_e32 v64, v178, v64
	v_fma_f32 v84, 0x3f575c64, v126, -v179
	v_fmamk_f32 v178, v110, 0xbe11bafb, v175
	v_fma_f32 v174, 0x3f575c64, v169, -v171
	v_mul_f32_e32 v179, 0xbf0a6770, v116
	v_add_f32_e32 v64, v85, v64
	v_dual_mul_f32 v116, 0xbf4178ce, v116 :: v_dual_add_f32 v65, v84, v65
	s_delay_alu instid0(VALU_DEP_4)
	v_dual_mul_f32 v68, 0xbe903f40, v68 :: v_dual_add_f32 v67, v174, v101
	v_fmamk_f32 v174, v78, 0xbf27a4f4, v102
	v_mul_f32_e32 v101, 0xbf4178ce, v173
	v_fma_f32 v176, 0xbe11bafb, v111, -v114
	v_fma_f32 v102, 0xbf27a4f4, v78, -v102
	v_fmac_f32_e32 v114, 0xbe11bafb, v111
	v_add_f32_e32 v174, v41, v174
	v_fmamk_f32 v87, v169, 0xbf27a4f4, v101
	v_fma_f32 v101, 0xbf27a4f4, v169, -v101
	v_add_f32_e32 v102, v41, v102
	v_fma_f32 v175, 0xbe11bafb, v110, -v175
	v_add_f32_e32 v174, v178, v174
	s_delay_alu instid0(VALU_DEP_4) | instskip(NEXT) | instid1(VALU_DEP_3)
	v_dual_fmamk_f32 v178, v122, 0x3f575c64, v179 :: v_dual_add_f32 v65, v101, v65
	v_dual_mul_f32 v101, 0x3f68dda4, v172 :: v_dual_add_f32 v102, v175, v102
	v_mul_f32_e32 v86, 0x3f0a6770, v86
	s_delay_alu instid0(VALU_DEP_3) | instskip(SKIP_1) | instid1(VALU_DEP_1)
	v_add_f32_e32 v85, v178, v174
	v_fmamk_f32 v174, v126, 0xbf75a155, v181
	v_add_f32_e32 v85, v174, v85
	v_mul_f32_e32 v174, 0x3f68dda4, v173
	s_delay_alu instid0(VALU_DEP_1) | instskip(SKIP_3) | instid1(VALU_DEP_3)
	v_dual_fmamk_f32 v178, v169, 0x3ed4b147, v174 :: v_dual_add_f32 v71, v87, v71
	v_mul_f32_e32 v87, 0xbf4178ce, v69
	v_mul_f32_e32 v69, 0xbe903f40, v69
	v_fma_f32 v174, 0x3ed4b147, v169, -v174
	v_fma_f32 v84, 0xbf27a4f4, v77, -v87
	v_fmac_f32_e32 v87, 0xbf27a4f4, v77
	s_delay_alu instid0(VALU_DEP_4) | instskip(NEXT) | instid1(VALU_DEP_3)
	v_fma_f32 v175, 0xbf75a155, v77, -v69
	v_dual_fmac_f32 v69, 0xbf75a155, v77 :: v_dual_add_f32 v84, v40, v84
	s_delay_alu instid0(VALU_DEP_3) | instskip(NEXT) | instid1(VALU_DEP_3)
	v_add_f32_e32 v87, v40, v87
	v_add_f32_e32 v175, v40, v175
	s_delay_alu instid0(VALU_DEP_3) | instskip(NEXT) | instid1(VALU_DEP_4)
	v_add_f32_e32 v69, v40, v69
	v_add_f32_e32 v84, v176, v84
	v_fma_f32 v176, 0x3f575c64, v123, -v177
	v_add_f32_e32 v87, v114, v87
	v_fmac_f32_e32 v177, 0x3f575c64, v123
	v_fma_f32 v114, 0x3f575c64, v122, -v179
	s_delay_alu instid0(VALU_DEP_4) | instskip(SKIP_1) | instid1(VALU_DEP_4)
	v_add_f32_e32 v84, v176, v84
	v_fma_f32 v176, 0xbf75a155, v127, -v180
	v_add_f32_e32 v87, v177, v87
	v_fmac_f32_e32 v180, 0xbf75a155, v127
	v_add_f32_e32 v102, v114, v102
	v_fma_f32 v114, 0xbf75a155, v126, -v181
	v_add_f32_e32 v84, v176, v84
	v_fma_f32 v176, 0x3ed4b147, v168, -v101
	v_fmac_f32_e32 v101, 0x3ed4b147, v168
	s_delay_alu instid0(VALU_DEP_4) | instskip(NEXT) | instid1(VALU_DEP_3)
	v_dual_mul_f32 v177, 0x3f68dda4, v103 :: v_dual_add_f32 v114, v114, v102
	v_add_f32_e32 v84, v176, v84
	v_fma_f32 v176, 0x3f575c64, v111, -v86
	s_delay_alu instid0(VALU_DEP_3) | instskip(SKIP_3) | instid1(VALU_DEP_4)
	v_dual_fmac_f32 v86, 0x3f575c64, v111 :: v_dual_add_f32 v103, v174, v114
	v_mul_f32_e32 v114, 0xbf7d64f0, v172
	v_fmamk_f32 v172, v110, 0x3f575c64, v100
	v_fma_f32 v100, 0x3f575c64, v110, -v100
	v_add_f32_e32 v69, v86, v69
	v_dual_fmamk_f32 v86, v126, 0x3ed4b147, v167 :: v_dual_add_f32 v87, v180, v87
	v_add_f32_e32 v175, v176, v175
	v_fma_f32 v176, 0xbf27a4f4, v123, -v115
	v_fmac_f32_e32 v115, 0xbf27a4f4, v123
	s_delay_alu instid0(VALU_DEP_4)
	v_dual_add_f32 v85, v178, v85 :: v_dual_add_f32 v102, v101, v87
	v_fmamk_f32 v101, v78, 0xbf75a155, v68
	v_fma_f32 v68, 0xbf75a155, v78, -v68
	v_add_f32_e32 v87, v176, v175
	v_fma_f32 v175, 0x3ed4b147, v127, -v177
	v_add_f32_e32 v69, v115, v69
	v_add_f32_e32 v101, v41, v101
	v_dual_add_f32 v68, v41, v68 :: v_dual_fmac_f32 v177, 0x3ed4b147, v127
	s_delay_alu instid0(VALU_DEP_4) | instskip(SKIP_1) | instid1(VALU_DEP_4)
	v_add_f32_e32 v87, v175, v87
	v_fma_f32 v174, 0xbe11bafb, v168, -v114
	v_dual_fmac_f32 v114, 0xbe11bafb, v168 :: v_dual_add_f32 v101, v172, v101
	v_fmamk_f32 v172, v122, 0xbf27a4f4, v116
	v_add_f32_e32 v68, v100, v68
	v_fma_f32 v100, 0xbf27a4f4, v122, -v116
	v_mul_f32_e32 v116, 0xbf7d64f0, v173
	v_add_f32_e32 v69, v177, v69
	v_add_f32_e32 v101, v172, v101
	s_delay_alu instid0(VALU_DEP_4) | instskip(SKIP_2) | instid1(VALU_DEP_4)
	v_add_f32_e32 v68, v100, v68
	v_fma_f32 v100, 0x3ed4b147, v126, -v167
	v_fmamk_f32 v115, v169, 0xbe11bafb, v116
	v_add_f32_e32 v101, v86, v101
	v_fma_f32 v167, 0xbe11bafb, v169, -v116
	v_add_f32_e32 v86, v174, v87
	v_add_f32_e32 v68, v100, v68
	;; [unrolled: 1-line block ×4, first 2 shown]
	v_add_nc_u32_e32 v116, 0x9a0, v89
	v_add_nc_u32_e32 v115, 0xe70, v89
	v_dual_add_f32 v101, v167, v68 :: v_dual_add_nc_u32 v114, 0x1340, v89
	v_add_nc_u32_e32 v69, 0x1810, v89
	v_add_nc_u32_e32 v68, 0x1ce0, v89
	v_lshrrev_b32_e32 v167, 1, v88
	s_and_saveexec_b32 s2, vcc_lo
	s_cbranch_execz .LBB0_5
; %bb.4:
	v_dual_mul_f32 v42, 0x3ed4b147, v78 :: v_dual_mul_f32 v45, 0x3ed4b147, v77
	v_dual_mul_f32 v48, 0xbf27a4f4, v111 :: v_dual_mul_f32 v49, 0xbf27a4f4, v110
	v_mul_f32_e32 v52, 0xbf75a155, v123
	s_delay_alu instid0(VALU_DEP_3) | instskip(NEXT) | instid1(VALU_DEP_4)
	v_dual_add_f32 v42, v109, v42 :: v_dual_mul_f32 v57, 0xbf75a155, v168
	v_dual_sub_f32 v45, v45, v79 :: v_dual_mul_f32 v58, 0x3f575c64, v169
	s_delay_alu instid0(VALU_DEP_4) | instskip(NEXT) | instid1(VALU_DEP_3)
	v_add_f32_e32 v49, v121, v49
	v_add_f32_e32 v42, v41, v42
	v_mul_f32_e32 v53, 0xbf75a155, v122
	v_dual_sub_f32 v48, v48, v118 :: v_dual_mul_f32 v59, 0x3f575c64, v168
	v_dual_mul_f32 v43, 0x3f575c64, v77 :: v_dual_mul_f32 v44, 0x3f575c64, v78
	s_delay_alu instid0(VALU_DEP_4) | instskip(SKIP_2) | instid1(VALU_DEP_3)
	v_dual_add_f32 v42, v49, v42 :: v_dual_add_f32 v45, v40, v45
	v_dual_mul_f32 v46, 0x3ed4b147, v111 :: v_dual_mul_f32 v47, 0x3ed4b147, v110
	v_dual_mul_f32 v50, 0xbe11bafb, v123 :: v_dual_mul_f32 v51, 0xbe11bafb, v122
	v_add_f32_e32 v45, v48, v45
	v_sub_f32_e32 v48, v52, v120
	v_dual_mul_f32 v56, 0xbe11bafb, v127 :: v_dual_add_f32 v49, v125, v53
	v_dual_mul_f32 v53, 0xbe11bafb, v126 :: v_dual_add_f32 v52, v41, v99
	v_dual_mul_f32 v54, 0xbf27a4f4, v127 :: v_dual_mul_f32 v55, 0xbf27a4f4, v126
	s_delay_alu instid0(VALU_DEP_2) | instskip(SKIP_2) | instid1(VALU_DEP_3)
	v_dual_add_f32 v42, v49, v42 :: v_dual_add_f32 v49, v128, v53
	v_dual_mul_f32 v53, 0xbf75a155, v169 :: v_dual_add_f32 v44, v76, v44
	v_add_f32_e32 v45, v48, v45
	v_dual_sub_f32 v43, v43, v75 :: v_dual_add_f32 v42, v49, v42
	v_add_f32_e32 v49, v171, v58
	s_delay_alu instid0(VALU_DEP_4) | instskip(SKIP_2) | instid1(VALU_DEP_3)
	v_dual_add_f32 v58, v40, v106 :: v_dual_add_f32 v41, v41, v44
	v_add_f32_e32 v48, v52, v98
	v_sub_f32_e32 v52, v56, v124
	v_dual_add_f32 v42, v49, v42 :: v_dual_add_f32 v49, v58, v83
	s_delay_alu instid0(VALU_DEP_3) | instskip(SKIP_1) | instid1(VALU_DEP_3)
	v_dual_add_f32 v44, v81, v47 :: v_dual_add_f32 v47, v48, v97
	v_dual_add_f32 v40, v40, v43 :: v_dual_sub_f32 v43, v46, v80
	v_dual_add_f32 v48, v49, v82 :: v_dual_add_f32 v49, v52, v45
	s_delay_alu instid0(VALU_DEP_3) | instskip(NEXT) | instid1(VALU_DEP_3)
	v_dual_add_f32 v41, v44, v41 :: v_dual_add_f32 v44, v47, v96
	v_dual_add_f32 v47, v108, v51 :: v_dual_add_f32 v40, v43, v40
	s_delay_alu instid0(VALU_DEP_3) | instskip(NEXT) | instid1(VALU_DEP_3)
	v_dual_add_f32 v45, v48, v74 :: v_dual_add_f32 v46, v119, v55
	v_add_f32_e32 v44, v44, v95
	v_mul_u32_u24_e32 v48, 22, v167
	s_delay_alu instid0(VALU_DEP_3) | instskip(SKIP_1) | instid1(VALU_DEP_4)
	v_add_f32_e32 v45, v45, v73
	v_add_f32_e32 v41, v47, v41
	;; [unrolled: 1-line block ×3, first 2 shown]
	v_sub_f32_e32 v47, v59, v131
	v_or_b32_e32 v48, v48, v166
	s_delay_alu instid0(VALU_DEP_4) | instskip(SKIP_1) | instid1(VALU_DEP_2)
	v_dual_add_f32 v44, v45, v72 :: v_dual_add_f32 v41, v46, v41
	v_add_f32_e32 v46, v130, v53
	v_add_f32_e32 v44, v44, v63
	s_delay_alu instid0(VALU_DEP_1) | instskip(NEXT) | instid1(VALU_DEP_1)
	v_dual_sub_f32 v45, v50, v107 :: v_dual_add_f32 v44, v44, v62
	v_dual_add_f32 v40, v45, v40 :: v_dual_sub_f32 v45, v54, v117
	v_add_f32_e32 v43, v43, v93
	s_delay_alu instid0(VALU_DEP_3) | instskip(SKIP_1) | instid1(VALU_DEP_4)
	v_add_f32_e32 v51, v44, v61
	v_add_f32_e32 v44, v46, v41
	;; [unrolled: 1-line block ×3, first 2 shown]
	s_delay_alu instid0(VALU_DEP_4) | instskip(SKIP_1) | instid1(VALU_DEP_2)
	v_add_f32_e32 v43, v43, v92
	v_add_f32_e32 v41, v47, v49
	v_dual_add_f32 v50, v43, v90 :: v_dual_sub_f32 v45, v57, v129
	s_delay_alu instid0(VALU_DEP_1)
	v_dual_add_f32 v46, v50, v91 :: v_dual_add_f32 v43, v45, v40
	v_add_f32_e32 v45, v51, v60
	v_lshl_add_u32 v40, v48, 3, v165
	ds_store_2addr_b64 v40, v[45:46], v[43:44] offset1:2
	ds_store_2addr_b64 v40, v[41:42], v[70:71] offset0:4 offset1:6
	ds_store_2addr_b64 v40, v[84:85], v[86:87] offset0:8 offset1:10
	;; [unrolled: 1-line block ×4, first 2 shown]
	ds_store_b64 v40, v[161:162] offset:160
.LBB0_5:
	s_wait_alu 0xfffe
	s_or_b32 exec_lo, exec_lo, s2
	v_lshrrev_b16 v40, 1, v163
	v_lshrrev_b16 v41, 1, v88
	global_wb scope:SCOPE_SE
	s_wait_dscnt 0x0
	s_barrier_signal -1
	s_barrier_wait -1
	v_and_b32_e32 v40, 0x7f, v40
	global_inv scope:SCOPE_SE
	v_mad_co_u64_u32 v[110:111], null, v163, 48, s[10:11]
	s_add_nc_u64 s[2:3], s[8:9], 0x21b0
	v_mul_lo_u16 v40, 0xbb, v40
	v_lshlrev_b32_e32 v208, 3, v163
	v_add_nc_u32_e32 v188, 0x600, v164
	s_delay_alu instid0(VALU_DEP_3) | instskip(SKIP_1) | instid1(VALU_DEP_2)
	v_lshrrev_b16 v76, 11, v40
	v_and_b32_e32 v40, 0x7f, v41
	v_mul_lo_u16 v41, v76, 22
	s_delay_alu instid0(VALU_DEP_2) | instskip(NEXT) | instid1(VALU_DEP_2)
	v_mul_lo_u16 v40, 0xbb, v40
	v_sub_nc_u16 v41, v163, v41
	s_delay_alu instid0(VALU_DEP_2) | instskip(NEXT) | instid1(VALU_DEP_2)
	v_lshrrev_b16 v77, 11, v40
	v_and_b32_e32 v106, 0xff, v41
	s_delay_alu instid0(VALU_DEP_2) | instskip(NEXT) | instid1(VALU_DEP_2)
	v_mul_lo_u16 v42, v77, 22
	v_mad_co_u64_u32 v[40:41], null, v106, 48, s[10:11]
	s_clause 0x1
	global_load_b128 v[60:63], v[40:41], off offset:160
	global_load_b128 v[56:59], v[40:41], off offset:176
	v_sub_nc_u16 v42, v88, v42
	v_add_nc_u32_e32 v174, 0x800, v164
	v_add_nc_u32_e32 v173, 0xc00, v164
	v_and_b32_e32 v89, 0xffff, v77
	s_delay_alu instid0(VALU_DEP_4) | instskip(NEXT) | instid1(VALU_DEP_2)
	v_and_b32_e32 v107, 0xff, v42
	v_mul_u32_u24_e32 v109, 0x9a, v89
	s_delay_alu instid0(VALU_DEP_2)
	v_mad_co_u64_u32 v[42:43], null, v107, 48, s[10:11]
	s_clause 0x3
	global_load_b128 v[52:55], v[40:41], off offset:192
	global_load_b128 v[48:51], v[42:43], off offset:160
	;; [unrolled: 1-line block ×4, first 2 shown]
	ds_load_2addr_b64 v[72:75], v164 offset0:154 offset1:231
	v_and_b32_e32 v88, 0xffff, v76
	ds_load_2addr_b64 v[76:79], v174 offset0:52 offset1:129
	ds_load_2addr_b64 v[80:83], v173 offset0:78 offset1:155
	v_add_nc_u32_e32 v172, 0x1000, v164
	v_add_nc_u32_e32 v175, 0x1800, v164
	;; [unrolled: 1-line block ×3, first 2 shown]
	v_mul_u32_u24_e32 v108, 0x9a, v88
	s_wait_loadcnt_dscnt 0x400
	v_dual_mul_f32 v119, v77, v63 :: v_dual_mul_f32 v122, v80, v57
	ds_load_2addr_b64 v[88:91], v172 offset0:104 offset1:181
	ds_load_2addr_b64 v[92:95], v175 offset0:2 offset1:79
	;; [unrolled: 1-line block ×3, first 2 shown]
	v_dual_mul_f32 v120, v76, v63 :: v_dual_mul_f32 v121, v81, v57
	s_wait_loadcnt 0x2
	v_mul_f32_e32 v129, v75, v49
	v_lshl_add_u32 v168, v118, 3, v165
	v_mul_f32_e32 v118, v72, v61
	s_wait_dscnt 0x2
	v_mul_f32_e32 v124, v88, v59
	v_mul_f32_e32 v123, v89, v59
	v_dual_mul_f32 v130, v74, v49 :: v_dual_add_nc_u32 v117, v108, v106
	s_wait_dscnt 0x1
	v_dual_mul_f32 v126, v92, v53 :: v_dual_mul_f32 v131, v79, v51
	s_wait_loadcnt_dscnt 0x100
	v_dual_mul_f32 v128, v96, v55 :: v_dual_mul_f32 v177, v82, v45
	v_dual_mul_f32 v171, v78, v51 :: v_dual_mul_f32 v176, v83, v45
	s_wait_loadcnt 0x0
	v_dual_mul_f32 v178, v91, v47 :: v_dual_mul_f32 v181, v94, v41
	s_delay_alu instid0(VALU_DEP_2) | instskip(SKIP_2) | instid1(VALU_DEP_4)
	v_dual_fmac_f32 v122, v81, v56 :: v_dual_fmac_f32 v171, v79, v50
	v_fmac_f32_e32 v124, v89, v58
	v_lshl_add_u32 v169, v117, 3, v165
	v_fmac_f32_e32 v181, v95, v40
	v_mul_f32_e32 v117, v73, v61
	v_mul_f32_e32 v125, v93, v53
	;; [unrolled: 1-line block ×3, first 2 shown]
	v_dual_mul_f32 v179, v90, v47 :: v_dual_mul_f32 v180, v95, v41
	v_dual_mul_f32 v183, v98, v43 :: v_dual_fmac_f32 v118, v73, v60
	s_delay_alu instid0(VALU_DEP_2)
	v_dual_fmac_f32 v126, v93, v52 :: v_dual_fmac_f32 v179, v91, v46
	v_dual_fmac_f32 v128, v97, v54 :: v_dual_add_f32 v93, v122, v124
	v_mul_f32_e32 v182, v99, v43
	ds_load_2addr_b64 v[106:109], v164 offset1:77
	v_fma_f32 v72, v72, v60, -v117
	v_add_f32_e32 v89, v118, v128
	v_fma_f32 v73, v76, v62, -v119
	v_dual_fmac_f32 v120, v77, v62 :: v_dual_fmac_f32 v177, v83, v44
	v_fma_f32 v76, v80, v56, -v121
	v_fma_f32 v77, v88, v58, -v123
	;; [unrolled: 1-line block ×5, first 2 shown]
	v_dual_fmac_f32 v130, v75, v48 :: v_dual_add_f32 v91, v120, v126
	v_fma_f32 v75, v78, v50, -v131
	v_fma_f32 v78, v82, v44, -v176
	v_fma_f32 v82, v94, v40, -v180
	v_fma_f32 v83, v98, v42, -v182
	v_dual_fmac_f32 v183, v99, v42 :: v_dual_add_f32 v88, v72, v81
	v_fma_f32 v79, v90, v46, -v178
	v_dual_sub_f32 v72, v72, v81 :: v_dual_sub_f32 v81, v118, v128
	v_add_f32_e32 v90, v73, v80
	v_dual_sub_f32 v73, v73, v80 :: v_dual_sub_f32 v80, v120, v126
	v_dual_add_f32 v92, v76, v77 :: v_dual_add_f32 v95, v130, v183
	v_sub_f32_e32 v76, v77, v76
	v_dual_add_f32 v94, v74, v83 :: v_dual_add_f32 v97, v171, v181
	v_dual_add_f32 v96, v75, v82 :: v_dual_add_f32 v99, v177, v179
	v_dual_sub_f32 v77, v124, v122 :: v_dual_sub_f32 v74, v74, v83
	v_sub_f32_e32 v75, v75, v82
	v_dual_sub_f32 v83, v130, v183 :: v_dual_sub_f32 v82, v171, v181
	v_add_f32_e32 v117, v90, v88
	v_add_f32_e32 v98, v78, v79
	v_dual_sub_f32 v78, v79, v78 :: v_dual_sub_f32 v119, v90, v88
	v_sub_f32_e32 v79, v179, v177
	v_add_f32_e32 v118, v91, v89
	v_dual_sub_f32 v120, v91, v89 :: v_dual_sub_f32 v125, v73, v72
	v_dual_sub_f32 v88, v88, v92 :: v_dual_sub_f32 v89, v89, v93
	v_dual_add_f32 v121, v76, v73 :: v_dual_add_f32 v122, v77, v80
	v_dual_sub_f32 v123, v76, v73 :: v_dual_sub_f32 v124, v77, v80
	v_dual_add_f32 v73, v96, v94 :: v_dual_add_f32 v126, v97, v95
	v_dual_sub_f32 v90, v92, v90 :: v_dual_sub_f32 v77, v81, v77
	v_dual_sub_f32 v91, v93, v91 :: v_dual_sub_f32 v76, v72, v76
	v_dual_sub_f32 v80, v80, v81 :: v_dual_add_f32 v129, v78, v75
	v_dual_sub_f32 v127, v96, v94 :: v_dual_sub_f32 v128, v97, v95
	v_dual_sub_f32 v94, v94, v98 :: v_dual_sub_f32 v97, v99, v97
	;; [unrolled: 1-line block ×3, first 2 shown]
	v_sub_f32_e32 v171, v79, v82
	v_dual_add_f32 v130, v79, v82 :: v_dual_sub_f32 v131, v78, v75
	v_sub_f32_e32 v176, v75, v74
	v_dual_sub_f32 v82, v82, v83 :: v_dual_add_f32 v93, v93, v118
	v_dual_add_f32 v92, v92, v117 :: v_dual_mul_f32 v75, 0x3f4a47b2, v88
	v_dual_mul_f32 v88, 0x3f4a47b2, v89 :: v_dual_add_f32 v99, v99, v126
	v_dual_sub_f32 v78, v74, v78 :: v_dual_sub_f32 v79, v83, v79
	v_add_f32_e32 v117, v121, v72
	v_dual_add_f32 v81, v122, v81 :: v_dual_mul_f32 v118, 0x3d64c772, v91
	v_dual_mul_f32 v89, 0x3d64c772, v90 :: v_dual_add_f32 v98, v98, v73
	v_dual_mul_f32 v121, 0xbf08b237, v123 :: v_dual_mul_f32 v122, 0xbf08b237, v124
	v_dual_mul_f32 v123, 0x3f5ff5aa, v125 :: v_dual_mul_f32 v124, 0x3f5ff5aa, v80
	v_dual_add_f32 v126, v129, v74 :: v_dual_add_f32 v83, v130, v83
	v_dual_mul_f32 v94, 0x3f4a47b2, v94 :: v_dual_mul_f32 v95, 0x3f4a47b2, v95
	v_dual_mul_f32 v129, 0x3d64c772, v96 :: v_dual_mul_f32 v130, 0x3d64c772, v97
	s_wait_dscnt 0x0
	v_dual_mul_f32 v131, 0xbf08b237, v131 :: v_dual_add_f32 v72, v106, v92
	v_dual_mul_f32 v171, 0xbf08b237, v171 :: v_dual_add_f32 v74, v108, v98
	v_dual_mul_f32 v177, 0x3f5ff5aa, v176 :: v_dual_mul_f32 v178, 0x3f5ff5aa, v82
	v_dual_add_f32 v73, v107, v93 :: v_dual_fmamk_f32 v90, v90, 0x3d64c772, v75
	v_fma_f32 v107, 0xbf3bfb3b, v119, -v75
	v_add_f32_e32 v75, v109, v99
	v_fmamk_f32 v91, v91, 0x3d64c772, v88
	v_fma_f32 v89, 0x3f3bfb3b, v119, -v89
	v_fma_f32 v106, 0x3f3bfb3b, v120, -v118
	;; [unrolled: 1-line block ×3, first 2 shown]
	v_dual_fmamk_f32 v118, v76, 0x3eae86e6, v121 :: v_dual_fmamk_f32 v119, v77, 0x3eae86e6, v122
	v_fma_f32 v120, 0x3f5ff5aa, v125, -v121
	v_fma_f32 v121, 0x3f5ff5aa, v80, -v122
	;; [unrolled: 1-line block ×4, first 2 shown]
	v_fmamk_f32 v76, v96, 0x3d64c772, v94
	v_fma_f32 v80, 0x3f3bfb3b, v127, -v129
	v_fma_f32 v94, 0xbf3bfb3b, v127, -v94
	;; [unrolled: 1-line block ×4, first 2 shown]
	v_fmamk_f32 v82, v99, 0xbf955555, v75
	v_fmamk_f32 v109, v78, 0x3eae86e6, v131
	;; [unrolled: 1-line block ×5, first 2 shown]
	v_fma_f32 v96, 0x3f3bfb3b, v128, -v130
	v_fma_f32 v95, 0xbf3bfb3b, v128, -v95
	v_fma_f32 v124, 0x3f5ff5aa, v176, -v131
	v_fma_f32 v128, 0xbeae86e6, v79, -v178
	v_dual_fmamk_f32 v79, v93, 0xbf955555, v73 :: v_dual_add_f32 v92, v107, v78
	v_dual_fmac_f32 v119, 0x3ee1c552, v81 :: v_dual_fmac_f32 v108, 0x3ee1c552, v83
	s_delay_alu instid0(VALU_DEP_4) | instskip(NEXT) | instid1(VALU_DEP_4)
	v_dual_fmac_f32 v121, 0x3ee1c552, v81 :: v_dual_fmac_f32 v124, 0x3ee1c552, v126
	v_dual_fmac_f32 v123, 0x3ee1c552, v81 :: v_dual_fmac_f32 v128, 0x3ee1c552, v83
	v_add_f32_e32 v90, v90, v78
	v_fmamk_f32 v81, v98, 0xbf955555, v74
	v_dual_fmac_f32 v118, 0x3ee1c552, v117 :: v_dual_fmac_f32 v109, 0x3ee1c552, v126
	v_dual_fmac_f32 v120, 0x3ee1c552, v117 :: v_dual_fmac_f32 v125, 0x3ee1c552, v83
	;; [unrolled: 1-line block ×3, first 2 shown]
	s_delay_alu instid0(VALU_DEP_4)
	v_dual_add_f32 v117, v76, v81 :: v_dual_add_f32 v76, v119, v90
	v_dual_add_f32 v91, v91, v79 :: v_dual_add_f32 v98, v80, v81
	v_add_f32_e32 v83, v89, v78
	v_add_f32_e32 v89, v106, v79
	v_dual_add_f32 v93, v88, v79 :: v_dual_add_f32 v106, v94, v81
	v_add_f32_e32 v126, v77, v82
	s_delay_alu instid0(VALU_DEP_4)
	v_dual_add_f32 v99, v96, v82 :: v_dual_sub_f32 v80, v83, v121
	v_dual_add_f32 v107, v95, v82 :: v_dual_add_f32 v82, v121, v83
	v_dual_sub_f32 v77, v91, v118 :: v_dual_sub_f32 v88, v92, v123
	v_dual_add_f32 v78, v123, v92 :: v_dual_sub_f32 v79, v93, v122
	v_dual_sub_f32 v90, v90, v119 :: v_dual_add_f32 v81, v120, v89
	v_dual_sub_f32 v83, v89, v120 :: v_dual_add_f32 v92, v108, v117
	v_dual_add_f32 v89, v122, v93 :: v_dual_add_f32 v94, v128, v106
	v_dual_add_f32 v91, v118, v91 :: v_dual_sub_f32 v108, v117, v108
	v_sub_f32_e32 v93, v126, v109
	v_dual_sub_f32 v95, v107, v127 :: v_dual_sub_f32 v96, v98, v125
	v_dual_add_f32 v97, v124, v99 :: v_dual_sub_f32 v106, v106, v128
	v_dual_add_f32 v98, v125, v98 :: v_dual_sub_f32 v99, v99, v124
	global_wb scope:SCOPE_SE
	s_barrier_signal -1
	s_barrier_wait -1
	global_inv scope:SCOPE_SE
	v_add_f32_e32 v107, v127, v107
	v_add_f32_e32 v109, v109, v126
	ds_store_2addr_b64 v169, v[72:73], v[76:77] offset1:22
	ds_store_2addr_b64 v169, v[78:79], v[80:81] offset0:44 offset1:66
	ds_store_2addr_b64 v169, v[82:83], v[88:89] offset0:88 offset1:110
	ds_store_b64 v169, v[90:91] offset:1056
	ds_store_2addr_b64 v168, v[74:75], v[92:93] offset1:22
	ds_store_2addr_b64 v168, v[94:95], v[96:97] offset0:44 offset1:66
	ds_store_2addr_b64 v168, v[98:99], v[106:107] offset0:88 offset1:110
	ds_store_b64 v168, v[108:109] offset:1056
	global_wb scope:SCOPE_SE
	s_wait_dscnt 0x0
	s_barrier_signal -1
	s_barrier_wait -1
	global_inv scope:SCOPE_SE
	s_clause 0x5
	global_load_b128 v[96:99], v[110:111], off offset:1216
	global_load_b128 v[88:91], v[110:111], off offset:1232
	;; [unrolled: 1-line block ×6, first 2 shown]
	ds_load_2addr_b64 v[106:109], v164 offset0:154 offset1:231
	ds_load_2addr_b64 v[118:121], v174 offset0:52 offset1:129
	;; [unrolled: 1-line block ×6, first 2 shown]
	v_lshl_add_u32 v171, v163, 3, v165
	v_add_nc_u32_e32 v117, 0x400, v164
	ds_load_2addr_b64 v[184:187], v164 offset1:77
	s_wait_loadcnt_dscnt 0x506
	v_dual_mul_f32 v110, v107, v97 :: v_dual_add_nc_u32 v189, 0x1200, v171
	s_wait_loadcnt_dscnt 0x404
	v_mul_f32_e32 v190, v123, v89
	s_wait_loadcnt_dscnt 0x301
	v_dual_mul_f32 v191, v122, v89 :: v_dual_mul_f32 v196, v181, v75
	v_dual_mul_f32 v111, v106, v97 :: v_dual_mul_f32 v192, v127, v91
	v_mul_f32_e32 v130, v119, v99
	s_wait_loadcnt 0x2
	v_dual_mul_f32 v131, v118, v99 :: v_dual_mul_f32 v198, v109, v93
	s_wait_loadcnt 0x1
	v_dual_mul_f32 v193, v126, v91 :: v_dual_mul_f32 v202, v125, v81
	v_dual_mul_f32 v195, v176, v73 :: v_dual_mul_f32 v200, v121, v95
	;; [unrolled: 1-line block ×3, first 2 shown]
	s_wait_loadcnt 0x0
	v_dual_mul_f32 v203, v124, v81 :: v_dual_mul_f32 v210, v182, v79
	v_mul_f32_e32 v201, v120, v95
	v_fma_f32 v106, v106, v96, -v110
	v_fma_f32 v110, v122, v88, -v190
	;; [unrolled: 1-line block ×3, first 2 shown]
	v_fmac_f32_e32 v210, v183, v78
	v_dual_mul_f32 v209, v183, v79 :: v_dual_mul_f32 v194, v177, v73
	v_dual_mul_f32 v197, v180, v75 :: v_dual_mul_f32 v206, v179, v77
	v_fmac_f32_e32 v111, v107, v96
	v_fma_f32 v107, v118, v98, -v130
	v_fma_f32 v118, v126, v90, -v192
	;; [unrolled: 1-line block ×3, first 2 shown]
	v_fmac_f32_e32 v203, v125, v80
	v_add_f32_e32 v125, v106, v122
	v_fmac_f32_e32 v201, v121, v94
	v_fma_f32 v121, v128, v82, -v204
	v_fmac_f32_e32 v199, v109, v92
	v_fma_f32 v109, v120, v94, -v200
	v_fma_f32 v120, v124, v80, -v202
	v_sub_f32_e32 v106, v106, v122
	v_fma_f32 v124, v182, v78, -v209
	v_fmac_f32_e32 v191, v123, v88
	v_fmac_f32_e32 v193, v127, v90
	;; [unrolled: 1-line block ×3, first 2 shown]
	v_fma_f32 v123, v178, v76, -v206
	v_add_f32_e32 v130, v108, v124
	v_sub_f32_e32 v108, v108, v124
	v_dual_mul_f32 v205, v128, v83 :: v_dual_add_f32 v128, v110, v118
	v_add_f32_e32 v126, v111, v197
	v_sub_f32_e32 v110, v118, v110
	v_dual_fmac_f32 v131, v119, v98 :: v_dual_sub_f32 v118, v193, v191
	v_fma_f32 v119, v176, v72, -v194
	v_dual_mul_f32 v207, v178, v77 :: v_dual_add_f32 v176, v109, v123
	v_dual_add_f32 v178, v120, v121 :: v_dual_fmac_f32 v195, v177, v72
	v_sub_f32_e32 v124, v199, v210
	s_delay_alu instid0(VALU_DEP_4) | instskip(NEXT) | instid1(VALU_DEP_4)
	v_add_f32_e32 v122, v107, v119
	v_fmac_f32_e32 v207, v179, v76
	v_fmac_f32_e32 v205, v129, v82
	v_add_f32_e32 v127, v131, v195
	v_dual_sub_f32 v107, v107, v119 :: v_dual_sub_f32 v196, v176, v130
	v_sub_f32_e32 v119, v131, v195
	v_add_f32_e32 v129, v191, v193
	v_sub_f32_e32 v111, v111, v197
	s_delay_alu instid0(VALU_DEP_4)
	v_dual_add_f32 v131, v199, v210 :: v_dual_sub_f32 v192, v110, v107
	v_dual_sub_f32 v109, v109, v123 :: v_dual_sub_f32 v194, v107, v106
	v_sub_f32_e32 v120, v121, v120
	v_dual_add_f32 v180, v122, v125 :: v_dual_sub_f32 v123, v201, v207
	v_sub_f32_e32 v182, v122, v125
	v_dual_sub_f32 v122, v128, v122 :: v_dual_add_f32 v177, v201, v207
	v_dual_add_f32 v190, v110, v107 :: v_dual_sub_f32 v125, v125, v128
	v_sub_f32_e32 v110, v106, v110
	v_dual_add_f32 v181, v127, v126 :: v_dual_sub_f32 v200, v120, v109
	v_dual_sub_f32 v183, v127, v126 :: v_dual_sub_f32 v202, v109, v108
	v_sub_f32_e32 v126, v126, v129
	v_add_f32_e32 v179, v203, v205
	v_dual_sub_f32 v121, v205, v203 :: v_dual_add_f32 v198, v120, v109
	v_add_f32_e32 v107, v176, v130
	v_sub_f32_e32 v130, v130, v178
	v_add_f32_e32 v191, v118, v119
	v_sub_f32_e32 v193, v118, v119
	v_dual_sub_f32 v127, v129, v127 :: v_dual_add_f32 v128, v128, v180
	v_sub_f32_e32 v118, v111, v118
	v_sub_f32_e32 v119, v119, v111
	v_dual_add_f32 v195, v177, v131 :: v_dual_mul_f32 v130, 0x3f4a47b2, v130
	v_dual_sub_f32 v176, v178, v176 :: v_dual_sub_f32 v197, v177, v131
	v_dual_add_f32 v199, v121, v123 :: v_dual_sub_f32 v120, v108, v120
	v_dual_sub_f32 v131, v131, v179 :: v_dual_mul_f32 v200, 0xbf08b237, v200
	v_dual_add_f32 v180, v190, v106 :: v_dual_mul_f32 v109, 0x3f4a47b2, v125
	v_mul_f32_e32 v125, 0x3f4a47b2, v126
	v_dual_mul_f32 v126, 0x3d64c772, v122 :: v_dual_add_f32 v111, v191, v111
	v_dual_mul_f32 v190, 0xbf08b237, v192 :: v_dual_mul_f32 v191, 0xbf08b237, v193
	s_delay_alu instid0(VALU_DEP_4) | instskip(SKIP_4) | instid1(VALU_DEP_3)
	v_dual_sub_f32 v201, v121, v123 :: v_dual_fmamk_f32 v122, v122, 0x3d64c772, v109
	v_sub_f32_e32 v123, v123, v124
	s_wait_dscnt 0x0
	v_dual_mul_f32 v131, 0x3f4a47b2, v131 :: v_dual_add_f32 v106, v184, v128
	v_dual_fmamk_f32 v184, v118, 0x3eae86e6, v191 :: v_dual_sub_f32 v121, v124, v121
	v_mul_f32_e32 v204, 0x3f5ff5aa, v123
	v_add_f32_e32 v124, v199, v124
	v_dual_sub_f32 v177, v179, v177 :: v_dual_add_f32 v178, v178, v107
	v_add_f32_e32 v129, v129, v181
	v_mul_f32_e32 v181, 0x3d64c772, v127
	v_dual_mul_f32 v192, 0x3f5ff5aa, v194 :: v_dual_add_f32 v179, v179, v195
	v_add_f32_e32 v195, v198, v108
	v_fmamk_f32 v127, v127, 0x3d64c772, v125
	s_delay_alu instid0(VALU_DEP_4)
	v_fma_f32 v181, 0x3f3bfb3b, v183, -v181
	v_mul_f32_e32 v193, 0x3f5ff5aa, v119
	v_fma_f32 v125, 0xbf3bfb3b, v183, -v125
	v_fmamk_f32 v183, v110, 0x3eae86e6, v190
	v_dual_add_f32 v108, v186, v178 :: v_dual_add_f32 v107, v185, v129
	v_fma_f32 v185, 0x3f5ff5aa, v194, -v190
	v_fma_f32 v190, 0x3f5ff5aa, v119, -v191
	;; [unrolled: 1-line block ×4, first 2 shown]
	v_mul_f32_e32 v198, 0x3d64c772, v176
	v_fmamk_f32 v110, v176, 0x3d64c772, v130
	v_fmac_f32_e32 v184, 0x3ee1c552, v111
	v_fma_f32 v130, 0xbf3bfb3b, v196, -v130
	v_dual_fmac_f32 v183, 0x3ee1c552, v180 :: v_dual_fmac_f32 v190, 0x3ee1c552, v111
	v_dual_fmac_f32 v185, 0x3ee1c552, v180 :: v_dual_fmac_f32 v192, 0x3ee1c552, v111
	v_fmamk_f32 v111, v178, 0xbf955555, v108
	v_mul_f32_e32 v203, 0x3f5ff5aa, v202
	v_fma_f32 v119, 0x3f3bfb3b, v196, -v198
	v_mul_f32_e32 v201, 0xbf08b237, v201
	v_fmamk_f32 v186, v120, 0x3eae86e6, v200
	v_dual_fmac_f32 v191, 0x3ee1c552, v180 :: v_dual_add_f32 v180, v130, v111
	v_fma_f32 v196, 0xbeae86e6, v120, -v203
	v_fmamk_f32 v120, v128, 0xbf955555, v106
	s_delay_alu instid0(VALU_DEP_4)
	v_fmac_f32_e32 v186, 0x3ee1c552, v195
	v_mul_f32_e32 v199, 0x3d64c772, v177
	v_fma_f32 v126, 0x3f3bfb3b, v182, -v126
	v_add_f32_e32 v178, v119, v111
	v_fma_f32 v194, 0x3f5ff5aa, v123, -v201
	v_add_f32_e32 v128, v122, v120
	;; [unrolled: 2-line block ×3, first 2 shown]
	v_fma_f32 v193, 0x3f5ff5aa, v202, -v200
	v_fmac_f32_e32 v194, 0x3ee1c552, v124
	v_dual_add_f32 v122, v126, v120 :: v_dual_fmamk_f32 v187, v121, 0x3eae86e6, v201
	s_delay_alu instid0(VALU_DEP_4)
	v_dual_add_f32 v126, v182, v120 :: v_dual_fmamk_f32 v123, v179, 0xbf955555, v109
	v_add_f32_e32 v182, v110, v111
	v_fma_f32 v176, 0x3f3bfb3b, v197, -v199
	v_add_f32_e32 v110, v184, v128
	v_fmamk_f32 v118, v177, 0x3d64c772, v131
	v_fma_f32 v131, 0xbf3bfb3b, v197, -v131
	v_fma_f32 v197, 0xbeae86e6, v121, -v204
	v_fmamk_f32 v121, v129, 0xbf955555, v107
	v_fmac_f32_e32 v196, 0x3ee1c552, v195
	v_dual_add_f32 v179, v176, v123 :: v_dual_sub_f32 v120, v122, v190
	v_fmac_f32_e32 v187, 0x3ee1c552, v124
	v_dual_fmac_f32 v197, 0x3ee1c552, v124 :: v_dual_sub_f32 v176, v178, v194
	v_fmac_f32_e32 v193, 0x3ee1c552, v195
	v_dual_add_f32 v195, v118, v123 :: v_dual_add_f32 v118, v192, v126
	v_dual_add_f32 v122, v190, v122 :: v_dual_add_f32 v127, v127, v121
	v_add_f32_e32 v178, v194, v178
	v_add_f32_e32 v124, v181, v121
	;; [unrolled: 1-line block ×4, first 2 shown]
	v_sub_f32_e32 v111, v127, v183
	v_add_f32_e32 v127, v183, v127
	v_add_f32_e32 v121, v185, v124
	v_dual_sub_f32 v123, v124, v185 :: v_dual_sub_f32 v124, v126, v192
	v_sub_f32_e32 v126, v128, v184
	v_add_f32_e32 v128, v187, v182
	v_sub_f32_e32 v182, v182, v187
	v_sub_f32_e32 v119, v125, v191
	v_dual_add_f32 v125, v191, v125 :: v_dual_add_f32 v130, v197, v180
	v_sub_f32_e32 v131, v181, v196
	v_add_f32_e32 v177, v193, v179
	v_sub_f32_e32 v179, v179, v193
	v_dual_sub_f32 v180, v180, v197 :: v_dual_sub_f32 v129, v195, v186
	v_add_f32_e32 v181, v196, v181
	v_add_f32_e32 v183, v186, v195
	ds_store_2addr_b64 v117, v[110:111], v[118:119] offset0:26 offset1:180
	ds_store_b64 v164, v[120:121] offset:3696
	ds_store_2addr_b64 v189, v[122:123], v[124:125] offset0:40 offset1:194
	ds_store_b64 v171, v[126:127] offset:7392
	ds_store_2addr_b64 v164, v[106:107], v[108:109] offset1:77
	ds_store_2addr_b64 v188, v[128:129], v[130:131] offset0:39 offset1:193
	ds_store_2addr_b64 v172, v[176:177], v[178:179] offset0:27 offset1:181
	;; [unrolled: 1-line block ×3, first 2 shown]
	global_wb scope:SCOPE_SE
	s_wait_dscnt 0x0
	s_barrier_signal -1
	s_barrier_wait -1
	global_inv scope:SCOPE_SE
	s_clause 0xd
	global_load_b64 v[130:131], v[104:105], off offset:8624
	global_load_b64 v[184:185], v208, s[2:3] offset:4312
	global_load_b64 v[186:187], v208, s[2:3] offset:616
	;; [unrolled: 1-line block ×13, first 2 shown]
	ds_load_2addr_b64 v[104:107], v164 offset1:77
	ds_load_2addr_b64 v[108:111], v173 offset0:78 offset1:155
	ds_load_2addr_b64 v[118:121], v172 offset0:104 offset1:181
	;; [unrolled: 1-line block ×6, first 2 shown]
	s_wait_loadcnt_dscnt 0xd06
	v_mul_f32_e32 v211, v105, v131
	v_mul_f32_e32 v210, v104, v131
	s_wait_loadcnt_dscnt 0xc05
	v_mul_f32_e32 v212, v111, v185
	v_mul_f32_e32 v131, v110, v185
	s_wait_loadcnt 0xb
	v_mul_f32_e32 v213, v107, v187
	s_wait_loadcnt_dscnt 0xa04
	v_dual_mul_f32 v185, v106, v187 :: v_dual_mul_f32 v214, v119, v189
	v_mul_f32_e32 v187, v118, v189
	s_wait_loadcnt_dscnt 0x903
	v_mul_f32_e32 v215, v123, v191
	s_wait_loadcnt 0x8
	v_dual_mul_f32 v189, v122, v191 :: v_dual_mul_f32 v216, v121, v193
	v_mul_f32_e32 v191, v120, v193
	s_wait_loadcnt 0x7
	v_mul_f32_e32 v217, v125, v195
	s_wait_loadcnt_dscnt 0x602
	v_dual_mul_f32 v193, v124, v195 :: v_dual_mul_f32 v218, v127, v197
	v_mul_f32_e32 v195, v126, v197
	s_wait_loadcnt_dscnt 0x501
	v_mul_f32_e32 v219, v177, v199
	s_wait_loadcnt 0x4
	v_dual_mul_f32 v197, v176, v199 :: v_dual_mul_f32 v220, v129, v201
	v_mul_f32_e32 v199, v128, v201
	s_wait_loadcnt 0x3
	v_mul_f32_e32 v221, v179, v203
	s_wait_loadcnt_dscnt 0x200
	v_dual_mul_f32 v201, v178, v203 :: v_dual_mul_f32 v222, v181, v205
	v_mul_f32_e32 v203, v180, v205
	s_wait_loadcnt 0x1
	v_mul_f32_e32 v223, v109, v207
	s_wait_loadcnt 0x0
	v_dual_mul_f32 v205, v108, v207 :: v_dual_mul_f32 v224, v183, v209
	v_mul_f32_e32 v207, v182, v209
	v_fma_f32 v209, v104, v130, -v211
	v_fmac_f32_e32 v210, v105, v130
	v_fma_f32 v130, v110, v184, -v212
	v_fmac_f32_e32 v131, v111, v184
	;; [unrolled: 2-line block ×14, first 2 shown]
	ds_store_2addr_b64 v164, v[209:210], v[184:185] offset1:77
	ds_store_2addr_b64 v172, v[186:187], v[190:191] offset0:104 offset1:181
	ds_store_2addr_b64 v164, v[188:189], v[192:193] offset0:154 offset1:231
	;; [unrolled: 1-line block ×6, first 2 shown]
	global_wb scope:SCOPE_SE
	s_wait_dscnt 0x0
	s_barrier_signal -1
	s_barrier_wait -1
	global_inv scope:SCOPE_SE
	ds_load_2addr_b64 v[118:121], v164 offset1:77
	ds_load_2addr_b64 v[108:111], v173 offset0:78 offset1:155
	ds_load_2addr_b64 v[104:107], v172 offset0:104 offset1:181
	;; [unrolled: 1-line block ×6, first 2 shown]
	global_wb scope:SCOPE_SE
	s_wait_dscnt 0x0
	s_barrier_signal -1
	s_barrier_wait -1
	global_inv scope:SCOPE_SE
	v_dual_sub_f32 v130, v118, v110 :: v_dual_sub_f32 v131, v119, v111
	v_dual_sub_f32 v184, v120, v104 :: v_dual_sub_f32 v185, v121, v105
	v_sub_f32_e32 v188, v122, v106
	v_dual_sub_f32 v110, v108, v182 :: v_dual_sub_f32 v189, v123, v107
	v_dual_sub_f32 v126, v124, v126 :: v_dual_sub_f32 v127, v125, v127
	;; [unrolled: 1-line block ×4, first 2 shown]
	v_sub_f32_e32 v111, v109, v183
	v_fma_f32 v128, v118, 2.0, -v130
	v_fma_f32 v129, v119, 2.0, -v131
	;; [unrolled: 1-line block ×14, first 2 shown]
	ds_store_b128 v112, v[128:131]
	ds_store_b128 v113, v[182:185]
	;; [unrolled: 1-line block ×7, first 2 shown]
	global_wb scope:SCOPE_SE
	s_wait_dscnt 0x0
	s_barrier_signal -1
	s_barrier_wait -1
	global_inv scope:SCOPE_SE
	ds_load_2addr_b64 v[112:115], v164 offset1:98
	ds_load_2addr_b64 v[128:131], v117 offset0:68 offset1:166
	ds_load_2addr_b64 v[124:127], v174 offset0:136 offset1:234
	;; [unrolled: 1-line block ×4, first 2 shown]
	ds_load_b64 v[104:105], v164 offset:7840
	s_and_saveexec_b32 s2, vcc_lo
	s_cbranch_execz .LBB0_7
; %bb.6:
	ds_load_2addr_b64 v[68:71], v174 offset0:17 offset1:115
	ds_load_2addr_b64 v[106:109], v164 offset0:77 offset1:175
	;; [unrolled: 1-line block ×5, first 2 shown]
	ds_load_b64 v[161:162], v164 offset:8456
	s_wait_dscnt 0x5
	v_dual_mov_b32 v110, v68 :: v_dual_mov_b32 v111, v69
.LBB0_7:
	s_wait_alu 0xfffe
	s_or_b32 exec_lo, exec_lo, s2
	s_wait_dscnt 0x5
	v_mul_f32_e32 v68, v33, v115
	s_wait_dscnt 0x4
	v_dual_mul_f32 v69, v33, v114 :: v_dual_mul_f32 v172, v35, v129
	v_add_nc_u32_e32 v33, 0x268, v164
	s_delay_alu instid0(VALU_DEP_3) | instskip(NEXT) | instid1(VALU_DEP_3)
	v_dual_mul_f32 v35, v35, v128 :: v_dual_fmac_f32 v68, v32, v114
	v_fma_f32 v32, v32, v115, -v69
	s_delay_alu instid0(VALU_DEP_4) | instskip(NEXT) | instid1(VALU_DEP_3)
	v_dual_fmac_f32 v172, v34, v128 :: v_dual_mul_f32 v69, v25, v131
	v_dual_mul_f32 v25, v25, v130 :: v_dual_add_f32 v114, v112, v68
	s_delay_alu instid0(VALU_DEP_4)
	v_fma_f32 v34, v34, v129, -v35
	s_wait_dscnt 0x3
	v_mul_f32_e32 v35, v27, v125
	v_fmac_f32_e32 v69, v24, v130
	v_fma_f32 v24, v24, v131, -v25
	v_add_f32_e32 v115, v113, v32
	v_mul_f32_e32 v25, v37, v127
	v_fmac_f32_e32 v35, v26, v124
	v_mul_f32_e32 v27, v27, v124
	global_wb scope:SCOPE_SE
	s_wait_dscnt 0x0
	s_barrier_signal -1
	v_fmac_f32_e32 v25, v36, v126
	s_barrier_wait -1
	v_fma_f32 v26, v26, v125, -v27
	v_mul_f32_e32 v27, v37, v126
	v_mul_f32_e32 v37, v39, v121
	global_inv scope:SCOPE_SE
	v_fma_f32 v27, v36, v127, -v27
	v_mul_f32_e32 v36, v39, v120
	v_dual_add_f32 v39, v114, v172 :: v_dual_add_f32 v114, v115, v34
	v_mul_f32_e32 v115, v29, v123
	s_delay_alu instid0(VALU_DEP_3) | instskip(NEXT) | instid1(VALU_DEP_2)
	v_fma_f32 v36, v38, v121, -v36
	v_fmac_f32_e32 v115, v28, v122
	v_mul_f32_e32 v29, v29, v122
	s_delay_alu instid0(VALU_DEP_1) | instskip(SKIP_2) | instid1(VALU_DEP_2)
	v_fma_f32 v28, v28, v123, -v29
	v_mul_f32_e32 v29, v31, v117
	v_mul_f32_e32 v31, v31, v116
	v_fmac_f32_e32 v29, v30, v116
	s_delay_alu instid0(VALU_DEP_2) | instskip(SKIP_2) | instid1(VALU_DEP_2)
	v_fma_f32 v30, v30, v117, -v31
	v_mul_f32_e32 v31, v23, v104
	v_mul_f32_e32 v23, v23, v105
	v_fma_f32 v31, v22, v105, -v31
	s_delay_alu instid0(VALU_DEP_2) | instskip(NEXT) | instid1(VALU_DEP_2)
	v_fmac_f32_e32 v23, v22, v104
	v_dual_fmac_f32 v37, v38, v120 :: v_dual_sub_f32 v104, v32, v31
	v_add_f32_e32 v32, v32, v31
	v_dual_add_f32 v38, v39, v69 :: v_dual_add_f32 v39, v114, v24
	v_mul_f32_e32 v114, v21, v119
	s_delay_alu instid0(VALU_DEP_4) | instskip(NEXT) | instid1(VALU_DEP_3)
	v_dual_mul_f32 v21, v21, v118 :: v_dual_mul_f32 v124, 0xbf4178ce, v104
	v_dual_add_f32 v38, v38, v35 :: v_dual_mul_f32 v121, 0xbe11bafb, v32
	s_delay_alu instid0(VALU_DEP_3) | instskip(SKIP_1) | instid1(VALU_DEP_4)
	v_fmac_f32_e32 v114, v20, v118
	v_mul_f32_e32 v118, 0x3ed4b147, v32
	v_fma_f32 v22, v20, v119, -v21
	s_delay_alu instid0(VALU_DEP_4) | instskip(SKIP_1) | instid1(VALU_DEP_3)
	v_dual_add_f32 v38, v38, v25 :: v_dual_mul_f32 v119, 0xbf7d64f0, v104
	v_mul_f32_e32 v105, 0x3f575c64, v32
	v_sub_f32_e32 v129, v34, v22
	s_delay_alu instid0(VALU_DEP_3) | instskip(NEXT) | instid1(VALU_DEP_1)
	v_add_f32_e32 v38, v38, v37
	v_add_f32_e32 v38, v38, v115
	s_delay_alu instid0(VALU_DEP_1) | instskip(SKIP_2) | instid1(VALU_DEP_3)
	v_add_f32_e32 v20, v38, v29
	v_dual_add_f32 v38, v68, v23 :: v_dual_mul_f32 v125, 0xbf27a4f4, v32
	v_mul_f32_e32 v32, 0xbf75a155, v32
	v_add_f32_e32 v20, v20, v114
	s_delay_alu instid0(VALU_DEP_3) | instskip(SKIP_3) | instid1(VALU_DEP_4)
	v_fmamk_f32 v126, v38, 0xbf27a4f4, v124
	v_fmamk_f32 v122, v38, 0xbe11bafb, v119
	v_fma_f32 v119, 0xbe11bafb, v38, -v119
	v_fma_f32 v124, 0xbf27a4f4, v38, -v124
	v_add_f32_e32 v126, v112, v126
	v_dual_add_f32 v39, v39, v26 :: v_dual_add_f32 v20, v20, v23
	v_sub_f32_e32 v68, v68, v23
	v_dual_add_f32 v122, v112, v122 :: v_dual_mul_f32 v23, 0xbf68dda4, v104
	s_delay_alu instid0(VALU_DEP_3) | instskip(NEXT) | instid1(VALU_DEP_3)
	v_dual_add_f32 v39, v39, v27 :: v_dual_add_f32 v124, v112, v124
	v_fmamk_f32 v120, v68, 0x3f68dda4, v118
	v_fmac_f32_e32 v118, 0xbf68dda4, v68
	s_delay_alu instid0(VALU_DEP_4) | instskip(NEXT) | instid1(VALU_DEP_4)
	v_fmamk_f32 v117, v38, 0x3ed4b147, v23
	v_add_f32_e32 v39, v39, v36
	v_fma_f32 v23, 0x3ed4b147, v38, -v23
	v_add_f32_e32 v120, v113, v120
	s_delay_alu instid0(VALU_DEP_4) | instskip(NEXT) | instid1(VALU_DEP_4)
	v_dual_add_f32 v118, v113, v118 :: v_dual_add_f32 v117, v112, v117
	v_add_f32_e32 v39, v39, v28
	v_fmamk_f32 v127, v68, 0x3f4178ce, v125
	v_fmamk_f32 v130, v68, 0x3e903f40, v32
	v_dual_fmac_f32 v32, 0xbe903f40, v68 :: v_dual_add_f32 v23, v112, v23
	s_delay_alu instid0(VALU_DEP_4)
	v_add_f32_e32 v21, v39, v30
	v_mul_f32_e32 v39, 0xbf0a6770, v104
	v_mul_f32_e32 v104, 0xbe903f40, v104
	v_add_f32_e32 v130, v113, v130
	v_add_f32_e32 v32, v113, v32
	v_add_f32_e32 v21, v21, v22
	v_add_f32_e32 v22, v34, v22
	v_fmamk_f32 v116, v38, 0x3f575c64, v39
	v_fma_f32 v39, 0x3f575c64, v38, -v39
	s_delay_alu instid0(VALU_DEP_4)
	v_dual_fmamk_f32 v128, v38, 0xbf75a155, v104 :: v_dual_add_f32 v21, v21, v31
	v_fma_f32 v38, 0xbf75a155, v38, -v104
	v_add_f32_e32 v34, v172, v114
	v_mul_f32_e32 v104, 0xbf68dda4, v129
	v_add_f32_e32 v116, v112, v116
	v_add_f32_e32 v39, v112, v39
	v_fmamk_f32 v31, v68, 0x3f0a6770, v105
	v_fmac_f32_e32 v105, 0xbf0a6770, v68
	v_fmamk_f32 v131, v34, 0x3ed4b147, v104
	v_fmamk_f32 v123, v68, 0x3f7d64f0, v121
	v_fmac_f32_e32 v121, 0xbf7d64f0, v68
	v_dual_add_f32 v31, v113, v31 :: v_dual_add_f32 v128, v112, v128
	s_delay_alu instid0(VALU_DEP_3)
	v_dual_add_f32 v116, v131, v116 :: v_dual_add_f32 v123, v113, v123
	v_dual_fmac_f32 v125, 0xbf4178ce, v68 :: v_dual_sub_f32 v68, v172, v114
	v_dual_add_f32 v105, v113, v105 :: v_dual_mul_f32 v114, 0x3ed4b147, v22
	v_add_f32_e32 v119, v112, v119
	v_dual_add_f32 v121, v113, v121 :: v_dual_add_f32 v38, v112, v38
	v_fma_f32 v104, 0x3ed4b147, v34, -v104
	s_delay_alu instid0(VALU_DEP_4)
	v_fmamk_f32 v112, v68, 0x3f68dda4, v114
	v_fmac_f32_e32 v114, 0xbf68dda4, v68
	v_mul_f32_e32 v131, 0xbf27a4f4, v22
	v_add_f32_e32 v125, v113, v125
	v_add_f32_e32 v39, v104, v39
	v_dual_add_f32 v31, v112, v31 :: v_dual_mul_f32 v172, 0xbf75a155, v22
	v_add_f32_e32 v104, v114, v105
	v_fmamk_f32 v114, v68, 0x3f4178ce, v131
	v_fmac_f32_e32 v131, 0xbf4178ce, v68
	s_delay_alu instid0(VALU_DEP_2) | instskip(SKIP_1) | instid1(VALU_DEP_1)
	v_dual_add_f32 v114, v114, v120 :: v_dual_add_f32 v127, v113, v127
	v_mul_f32_e32 v113, 0xbf4178ce, v129
	v_fmamk_f32 v112, v34, 0xbf27a4f4, v113
	v_fma_f32 v113, 0xbf27a4f4, v34, -v113
	s_delay_alu instid0(VALU_DEP_1) | instskip(SKIP_3) | instid1(VALU_DEP_3)
	v_dual_add_f32 v112, v112, v117 :: v_dual_add_f32 v23, v113, v23
	v_dual_add_f32 v113, v131, v118 :: v_dual_fmamk_f32 v118, v68, 0xbe903f40, v172
	v_mul_f32_e32 v120, 0x3f7d64f0, v129
	v_dual_mul_f32 v105, 0x3e903f40, v129 :: v_dual_fmac_f32 v172, 0x3e903f40, v68
	v_dual_mul_f32 v129, 0x3f0a6770, v129 :: v_dual_add_f32 v118, v118, v123
	s_delay_alu instid0(VALU_DEP_3) | instskip(SKIP_1) | instid1(VALU_DEP_1)
	v_fmamk_f32 v123, v34, 0xbe11bafb, v120
	v_fma_f32 v120, 0xbe11bafb, v34, -v120
	v_add_f32_e32 v120, v120, v124
	v_sub_f32_e32 v124, v24, v30
	v_dual_add_f32 v24, v24, v30 :: v_dual_fmamk_f32 v117, v34, 0xbf75a155, v105
	v_fma_f32 v30, 0x3f575c64, v34, -v129
	v_fma_f32 v105, 0xbf75a155, v34, -v105
	s_delay_alu instid0(VALU_DEP_2) | instskip(NEXT) | instid1(VALU_DEP_4)
	v_add_f32_e32 v30, v30, v38
	v_add_f32_e32 v117, v117, v122
	s_delay_alu instid0(VALU_DEP_3) | instskip(SKIP_2) | instid1(VALU_DEP_3)
	v_dual_mul_f32 v122, 0xbe11bafb, v22 :: v_dual_add_f32 v105, v105, v119
	v_mul_f32_e32 v22, 0x3f575c64, v22
	v_dual_add_f32 v123, v123, v126 :: v_dual_fmamk_f32 v126, v34, 0x3f575c64, v129
	v_fmamk_f32 v119, v68, 0xbf7d64f0, v122
	v_dual_fmac_f32 v122, 0x3f7d64f0, v68 :: v_dual_add_f32 v121, v172, v121
	v_mul_f32_e32 v38, 0x3e903f40, v124
	s_delay_alu instid0(VALU_DEP_2)
	v_add_f32_e32 v122, v122, v125
	v_dual_add_f32 v125, v126, v128 :: v_dual_fmamk_f32 v126, v68, 0xbf0a6770, v22
	v_mul_f32_e32 v128, 0xbf7d64f0, v124
	v_dual_fmac_f32 v22, 0x3f0a6770, v68 :: v_dual_add_f32 v119, v119, v127
	v_add_f32_e32 v127, v69, v29
	v_dual_sub_f32 v29, v69, v29 :: v_dual_mul_f32 v68, 0xbe11bafb, v24
	v_add_f32_e32 v69, v126, v130
	s_delay_alu instid0(VALU_DEP_4) | instskip(NEXT) | instid1(VALU_DEP_4)
	v_add_f32_e32 v22, v22, v32
	v_fmamk_f32 v34, v127, 0xbe11bafb, v128
	v_mul_f32_e32 v126, 0xbf75a155, v24
	s_delay_alu instid0(VALU_DEP_2) | instskip(SKIP_3) | instid1(VALU_DEP_3)
	v_add_f32_e32 v32, v34, v116
	v_fmamk_f32 v34, v29, 0x3f7d64f0, v68
	v_fma_f32 v116, 0xbe11bafb, v127, -v128
	v_fmac_f32_e32 v68, 0xbf7d64f0, v29
	v_dual_mul_f32 v128, 0x3f575c64, v24 :: v_dual_add_f32 v31, v34, v31
	s_delay_alu instid0(VALU_DEP_3) | instskip(SKIP_3) | instid1(VALU_DEP_4)
	v_dual_fmamk_f32 v34, v127, 0xbf75a155, v38 :: v_dual_add_f32 v39, v116, v39
	v_mul_f32_e32 v116, 0x3f68dda4, v124
	v_fma_f32 v38, 0xbf75a155, v127, -v38
	v_add_f32_e32 v68, v68, v104
	v_add_f32_e32 v34, v34, v112
	s_delay_alu instid0(VALU_DEP_4) | instskip(SKIP_3) | instid1(VALU_DEP_4)
	v_fmamk_f32 v112, v127, 0x3ed4b147, v116
	v_fma_f32 v116, 0x3ed4b147, v127, -v116
	v_fmamk_f32 v104, v29, 0xbe903f40, v126
	v_dual_fmac_f32 v126, 0x3e903f40, v29 :: v_dual_add_f32 v23, v38, v23
	v_add_f32_e32 v112, v112, v117
	s_delay_alu instid0(VALU_DEP_4) | instskip(NEXT) | instid1(VALU_DEP_4)
	v_add_f32_e32 v105, v116, v105
	v_add_f32_e32 v104, v104, v114
	s_delay_alu instid0(VALU_DEP_4) | instskip(SKIP_2) | instid1(VALU_DEP_3)
	v_dual_add_f32 v38, v126, v113 :: v_dual_mul_f32 v113, 0xbf0a6770, v124
	v_mul_f32_e32 v114, 0x3ed4b147, v24
	v_mul_f32_e32 v24, 0xbf27a4f4, v24
	v_fmamk_f32 v126, v127, 0x3f575c64, v113
	s_delay_alu instid0(VALU_DEP_3) | instskip(SKIP_2) | instid1(VALU_DEP_4)
	v_fmamk_f32 v117, v29, 0xbf68dda4, v114
	v_fmac_f32_e32 v114, 0x3f68dda4, v29
	v_fma_f32 v113, 0x3f575c64, v127, -v113
	v_dual_add_f32 v116, v126, v123 :: v_dual_fmamk_f32 v123, v29, 0x3f4178ce, v24
	s_delay_alu instid0(VALU_DEP_4) | instskip(NEXT) | instid1(VALU_DEP_3)
	v_add_f32_e32 v117, v117, v118
	v_add_f32_e32 v113, v113, v120
	s_delay_alu instid0(VALU_DEP_3) | instskip(SKIP_3) | instid1(VALU_DEP_3)
	v_dual_add_f32 v69, v123, v69 :: v_dual_fmamk_f32 v118, v29, 0x3f0a6770, v128
	v_dual_fmac_f32 v128, 0xbf0a6770, v29 :: v_dual_add_f32 v123, v35, v115
	v_dual_add_f32 v114, v114, v121 :: v_dual_mul_f32 v121, 0xbf4178ce, v124
	v_dual_fmac_f32 v24, 0xbf4178ce, v29 :: v_dual_sub_f32 v29, v35, v115
	v_add_f32_e32 v120, v128, v122
	v_sub_f32_e32 v122, v26, v28
	v_add_f32_e32 v26, v26, v28
	s_delay_alu instid0(VALU_DEP_4) | instskip(NEXT) | instid1(VALU_DEP_3)
	v_add_f32_e32 v22, v24, v22
	v_mul_f32_e32 v28, 0xbf4178ce, v122
	v_dual_add_f32 v118, v118, v119 :: v_dual_fmamk_f32 v119, v127, 0xbf27a4f4, v121
	v_fma_f32 v121, 0xbf27a4f4, v127, -v121
	v_mul_f32_e32 v35, 0xbf27a4f4, v26
	s_delay_alu instid0(VALU_DEP_4) | instskip(NEXT) | instid1(VALU_DEP_3)
	v_fmamk_f32 v115, v123, 0xbf27a4f4, v28
	v_dual_add_f32 v119, v119, v125 :: v_dual_add_f32 v30, v121, v30
	s_delay_alu instid0(VALU_DEP_3) | instskip(SKIP_2) | instid1(VALU_DEP_3)
	v_fmamk_f32 v121, v29, 0x3f4178ce, v35
	v_fmac_f32_e32 v35, 0xbf4178ce, v29
	v_mul_f32_e32 v24, 0x3f7d64f0, v122
	v_dual_add_f32 v32, v115, v32 :: v_dual_add_f32 v31, v121, v31
	s_delay_alu instid0(VALU_DEP_3) | instskip(NEXT) | instid1(VALU_DEP_3)
	v_add_f32_e32 v35, v35, v68
	v_fmamk_f32 v115, v123, 0xbe11bafb, v24
	v_mul_f32_e32 v121, 0xbe11bafb, v26
	v_fma_f32 v24, 0xbe11bafb, v123, -v24
	s_delay_alu instid0(VALU_DEP_3) | instskip(NEXT) | instid1(VALU_DEP_3)
	v_add_f32_e32 v34, v115, v34
	v_fmamk_f32 v68, v29, 0xbf7d64f0, v121
	v_mul_f32_e32 v115, 0x3f575c64, v26
	s_delay_alu instid0(VALU_DEP_2) | instskip(NEXT) | instid1(VALU_DEP_2)
	v_dual_fmac_f32 v121, 0x3f7d64f0, v29 :: v_dual_add_f32 v68, v68, v104
	v_dual_add_f32 v104, v24, v23 :: v_dual_fmamk_f32 v23, v29, 0x3f0a6770, v115
	v_mul_f32_e32 v24, 0xbe903f40, v122
	v_fmac_f32_e32 v115, 0xbf0a6770, v29
	s_delay_alu instid0(VALU_DEP_3) | instskip(SKIP_4) | instid1(VALU_DEP_4)
	v_add_f32_e32 v117, v23, v117
	v_fma_f32 v28, 0xbf27a4f4, v123, -v28
	v_mul_f32_e32 v23, 0xbf75a155, v26
	v_dual_add_f32 v38, v121, v38 :: v_dual_fmamk_f32 v121, v123, 0xbf75a155, v24
	v_fma_f32 v24, 0xbf75a155, v123, -v24
	v_dual_add_f32 v28, v28, v39 :: v_dual_mul_f32 v39, 0xbf0a6770, v122
	v_mul_f32_e32 v26, 0x3ed4b147, v26
	s_delay_alu instid0(VALU_DEP_3) | instskip(NEXT) | instid1(VALU_DEP_3)
	v_dual_add_f32 v116, v121, v116 :: v_dual_add_f32 v113, v24, v113
	v_fmamk_f32 v124, v123, 0x3f575c64, v39
	v_fma_f32 v39, 0x3f575c64, v123, -v39
	s_delay_alu instid0(VALU_DEP_1) | instskip(SKIP_4) | instid1(VALU_DEP_3)
	v_add_f32_e32 v39, v39, v105
	v_add_f32_e32 v105, v115, v114
	v_mul_f32_e32 v114, 0x3f68dda4, v122
	v_dual_add_f32 v112, v124, v112 :: v_dual_fmamk_f32 v115, v29, 0x3e903f40, v23
	v_fmac_f32_e32 v23, 0xbe903f40, v29
	v_dual_sub_f32 v122, v25, v37 :: v_dual_fmamk_f32 v121, v123, 0x3ed4b147, v114
	s_delay_alu instid0(VALU_DEP_3) | instskip(NEXT) | instid1(VALU_DEP_3)
	v_add_f32_e32 v115, v115, v118
	v_dual_add_f32 v118, v23, v120 :: v_dual_fmamk_f32 v23, v29, 0xbf68dda4, v26
	s_delay_alu instid0(VALU_DEP_3) | instskip(SKIP_4) | instid1(VALU_DEP_4)
	v_add_f32_e32 v119, v121, v119
	v_dual_add_f32 v121, v25, v37 :: v_dual_sub_f32 v120, v27, v36
	v_fma_f32 v24, 0x3ed4b147, v123, -v114
	v_add_f32_e32 v114, v27, v36
	v_add_f32_e32 v69, v23, v69
	v_mul_f32_e32 v27, 0xbe903f40, v120
	s_delay_alu instid0(VALU_DEP_4) | instskip(NEXT) | instid1(VALU_DEP_4)
	v_add_f32_e32 v123, v24, v30
	v_mul_f32_e32 v25, 0xbf75a155, v114
	v_mul_f32_e32 v30, 0x3f575c64, v114
	s_delay_alu instid0(VALU_DEP_4) | instskip(NEXT) | instid1(VALU_DEP_3)
	v_fmamk_f32 v23, v121, 0xbf75a155, v27
	v_fmamk_f32 v24, v122, 0x3e903f40, v25
	v_fmac_f32_e32 v25, 0xbe903f40, v122
	s_delay_alu instid0(VALU_DEP_1) | instskip(SKIP_2) | instid1(VALU_DEP_3)
	v_dual_add_f32 v25, v25, v35 :: v_dual_fmac_f32 v26, 0x3f68dda4, v29
	v_mul_f32_e32 v29, 0x3f0a6770, v120
	v_mul_f32_e32 v35, 0xbf27a4f4, v114
	v_add_f32_e32 v124, v26, v22
	v_add_f32_e32 v22, v23, v32
	v_fma_f32 v26, 0xbf75a155, v121, -v27
	v_fmamk_f32 v27, v121, 0x3f575c64, v29
	v_add_f32_e32 v23, v24, v31
	v_mul_f32_e32 v31, 0xbf4178ce, v120
	s_delay_alu instid0(VALU_DEP_4) | instskip(NEXT) | instid1(VALU_DEP_4)
	v_add_f32_e32 v24, v26, v28
	v_add_f32_e32 v26, v27, v34
	v_fma_f32 v28, 0x3f575c64, v121, -v29
	v_fmamk_f32 v27, v122, 0xbf0a6770, v30
	v_fmamk_f32 v32, v121, 0xbf27a4f4, v31
	v_fma_f32 v34, 0xbf27a4f4, v121, -v31
	s_delay_alu instid0(VALU_DEP_4) | instskip(NEXT) | instid1(VALU_DEP_4)
	v_add_f32_e32 v28, v28, v104
	v_dual_add_f32 v27, v27, v68 :: v_dual_fmac_f32 v30, 0x3f0a6770, v122
	s_delay_alu instid0(VALU_DEP_3) | instskip(NEXT) | instid1(VALU_DEP_2)
	v_add_f32_e32 v34, v34, v39
	v_dual_add_f32 v29, v30, v38 :: v_dual_add_f32 v30, v32, v112
	v_fmamk_f32 v32, v122, 0x3f4178ce, v35
	v_fmac_f32_e32 v35, 0xbf4178ce, v122
	s_delay_alu instid0(VALU_DEP_1) | instskip(SKIP_1) | instid1(VALU_DEP_1)
	v_add_f32_e32 v35, v35, v105
	v_mul_f32_e32 v105, 0xbe11bafb, v114
	v_dual_add_f32 v31, v32, v117 :: v_dual_fmamk_f32 v112, v122, 0x3f7d64f0, v105
	s_delay_alu instid0(VALU_DEP_1) | instskip(NEXT) | instid1(VALU_DEP_1)
	v_dual_mul_f32 v68, 0x3ed4b147, v114 :: v_dual_add_f32 v69, v112, v69
	v_fmamk_f32 v37, v122, 0xbf68dda4, v68
	v_mul_f32_e32 v36, 0x3f68dda4, v120
	s_delay_alu instid0(VALU_DEP_2) | instskip(NEXT) | instid1(VALU_DEP_1)
	v_dual_fmac_f32 v68, 0x3f68dda4, v122 :: v_dual_add_f32 v37, v37, v115
	v_dual_fmamk_f32 v32, v121, 0x3ed4b147, v36 :: v_dual_add_f32 v39, v68, v118
	v_fma_f32 v38, 0x3ed4b147, v121, -v36
	s_delay_alu instid0(VALU_DEP_2) | instskip(NEXT) | instid1(VALU_DEP_2)
	v_add_f32_e32 v36, v32, v116
	v_add_f32_e32 v38, v38, v113
	v_dual_mul_f32 v32, 0xbf7d64f0, v120 :: v_dual_fmac_f32 v105, 0xbf7d64f0, v122
	s_delay_alu instid0(VALU_DEP_1) | instskip(SKIP_1) | instid1(VALU_DEP_2)
	v_fmamk_f32 v104, v121, 0xbe11bafb, v32
	v_fma_f32 v32, 0xbe11bafb, v121, -v32
	v_dual_add_f32 v105, v105, v124 :: v_dual_add_f32 v68, v104, v119
	s_delay_alu instid0(VALU_DEP_2)
	v_add_f32_e32 v104, v32, v123
	ds_store_2addr_b64 v170, v[20:21], v[22:23] offset1:2
	ds_store_2addr_b64 v170, v[26:27], v[30:31] offset0:4 offset1:6
	ds_store_2addr_b64 v170, v[36:37], v[68:69] offset0:8 offset1:10
	;; [unrolled: 1-line block ×4, first 2 shown]
	ds_store_b64 v170, v[24:25] offset:160
	s_and_saveexec_b32 s2, vcc_lo
	s_cbranch_execz .LBB0_9
; %bb.8:
	v_dual_mul_f32 v20, v19, v161 :: v_dual_mul_f32 v21, v13, v108
	v_dual_mul_f32 v27, v7, v64 :: v_dual_mul_f32 v34, v5, v103
	v_mul_f32_e32 v28, v9, v70
	s_delay_alu instid0(VALU_DEP_3) | instskip(NEXT) | instid1(VALU_DEP_4)
	v_fma_f32 v20, v18, v162, -v20
	v_fma_f32 v21, v12, v109, -v21
	v_mul_f32_e32 v19, v19, v162
	v_fma_f32 v27, v6, v65, -v27
	v_dual_mul_f32 v30, v7, v65 :: v_dual_mul_f32 v9, v9, v71
	v_fma_f32 v28, v8, v71, -v28
	s_delay_alu instid0(VALU_DEP_4) | instskip(SKIP_1) | instid1(VALU_DEP_4)
	v_fmac_f32_e32 v19, v18, v161
	v_add_f32_e32 v18, v20, v21
	v_dual_mul_f32 v13, v13, v109 :: v_dual_fmac_f32 v30, v6, v64
	v_fmac_f32_e32 v9, v8, v70
	s_delay_alu instid0(VALU_DEP_3) | instskip(NEXT) | instid1(VALU_DEP_3)
	v_dual_mul_f32 v31, v11, v84 :: v_dual_mul_f32 v24, 0xbf75a155, v18
	v_dual_mul_f32 v22, v17, v66 :: v_dual_fmac_f32 v13, v12, v108
	v_dual_mul_f32 v11, v11, v85 :: v_dual_fmac_f32 v34, v4, v102
	v_mul_f32_e32 v116, 0xbe11bafb, v18
	s_delay_alu instid0(VALU_DEP_3) | instskip(NEXT) | instid1(VALU_DEP_4)
	v_fma_f32 v22, v16, v67, -v22
	v_sub_f32_e32 v25, v13, v19
	v_mul_f32_e32 v23, v15, v110
	v_dual_mul_f32 v15, v15, v111 :: v_dual_sub_f32 v36, v9, v30
	v_fma_f32 v31, v10, v85, -v31
	v_mul_f32_e32 v7, v5, v102
	s_delay_alu instid0(VALU_DEP_4) | instskip(NEXT) | instid1(VALU_DEP_4)
	v_fma_f32 v23, v14, v111, -v23
	v_dual_fmac_f32 v15, v14, v110 :: v_dual_fmamk_f32 v14, v25, 0x3e903f40, v24
	v_mul_f32_e32 v17, v17, v67
	s_delay_alu instid0(VALU_DEP_3) | instskip(SKIP_1) | instid1(VALU_DEP_4)
	v_dual_mul_f32 v39, v1, v87 :: v_dual_sub_f32 v68, v23, v22
	v_add_f32_e32 v32, v27, v28
	v_add_f32_e32 v14, v107, v14
	s_delay_alu instid0(VALU_DEP_4) | instskip(SKIP_3) | instid1(VALU_DEP_4)
	v_dual_add_f32 v26, v22, v23 :: v_dual_fmac_f32 v17, v16, v66
	v_fma_f32 v8, v4, v103, -v7
	v_mul_f32_e32 v70, 0x3f0a6770, v68
	v_mul_f32_e32 v124, 0x3e903f40, v68
	;; [unrolled: 1-line block ×3, first 2 shown]
	v_sub_f32_e32 v12, v15, v17
	v_dual_add_f32 v6, v8, v31 :: v_dual_fmac_f32 v11, v10, v84
	v_dual_sub_f32 v38, v21, v20 :: v_dual_add_f32 v65, v19, v13
	s_delay_alu instid0(VALU_DEP_3) | instskip(SKIP_1) | instid1(VALU_DEP_3)
	v_fmamk_f32 v29, v12, 0xbf0a6770, v16
	v_mul_f32_e32 v35, 0xbf27a4f4, v32
	v_dual_mul_f32 v7, v3, v100 :: v_dual_mul_f32 v66, 0xbe903f40, v38
	v_mul_f32_e32 v10, v1, v86
	s_delay_alu instid0(VALU_DEP_3) | instskip(SKIP_1) | instid1(VALU_DEP_4)
	v_dual_add_f32 v4, v29, v14 :: v_dual_fmamk_f32 v5, v36, 0x3f4178ce, v35
	v_mul_f32_e32 v14, 0x3ed4b147, v6
	v_fma_f32 v37, v2, v101, -v7
	s_delay_alu instid0(VALU_DEP_4) | instskip(SKIP_3) | instid1(VALU_DEP_3)
	v_fma_f32 v10, v0, v87, -v10
	v_mul_f32_e32 v64, v3, v101
	v_dual_add_f32 v4, v5, v4 :: v_dual_sub_f32 v29, v11, v34
	v_dual_fmac_f32 v39, v0, v86 :: v_dual_fmamk_f32 v0, v65, 0xbf75a155, v66
	v_dual_add_f32 v67, v37, v10 :: v_dual_fmac_f32 v64, v2, v100
	s_delay_alu instid0(VALU_DEP_3) | instskip(SKIP_2) | instid1(VALU_DEP_4)
	v_fmamk_f32 v5, v29, 0xbf68dda4, v14
	v_add_f32_e32 v69, v17, v15
	v_sub_f32_e32 v84, v28, v27
	v_dual_mul_f32 v71, 0xbe11bafb, v67 :: v_dual_add_f32 v0, v106, v0
	v_sub_f32_e32 v85, v39, v64
	s_delay_alu instid0(VALU_DEP_4) | instskip(NEXT) | instid1(VALU_DEP_4)
	v_dual_fmamk_f32 v1, v69, 0x3f575c64, v70 :: v_dual_add_f32 v86, v30, v9
	v_dual_mul_f32 v87, 0xbf4178ce, v84 :: v_dual_add_f32 v102, v34, v11
	v_dual_sub_f32 v100, v31, v8 :: v_dual_mul_f32 v101, 0xbf27a4f4, v18
	v_add_f32_e32 v4, v5, v4
	v_dual_fmamk_f32 v2, v85, 0x3f7d64f0, v71 :: v_dual_mul_f32 v113, 0x3f7d64f0, v68
	s_delay_alu instid0(VALU_DEP_4) | instskip(NEXT) | instid1(VALU_DEP_4)
	v_dual_add_f32 v0, v1, v0 :: v_dual_fmamk_f32 v3, v86, 0xbf27a4f4, v87
	v_dual_mul_f32 v103, 0x3f68dda4, v100 :: v_dual_sub_f32 v104, v10, v37
	s_delay_alu instid0(VALU_DEP_3) | instskip(NEXT) | instid1(VALU_DEP_3)
	v_dual_add_f32 v1, v2, v4 :: v_dual_fmamk_f32 v2, v25, 0x3f4178ce, v101
	v_dual_add_f32 v0, v3, v0 :: v_dual_mul_f32 v105, 0xbe11bafb, v26
	s_delay_alu instid0(VALU_DEP_3) | instskip(NEXT) | instid1(VALU_DEP_3)
	v_dual_fmamk_f32 v3, v102, 0x3ed4b147, v103 :: v_dual_add_f32 v108, v64, v39
	v_dual_mul_f32 v109, 0xbf7d64f0, v104 :: v_dual_add_f32 v2, v107, v2
	v_mul_f32_e32 v119, 0x3f68dda4, v104
	s_delay_alu instid0(VALU_DEP_3) | instskip(NEXT) | instid1(VALU_DEP_3)
	v_dual_add_f32 v0, v3, v0 :: v_dual_fmamk_f32 v5, v69, 0xbe11bafb, v113
	v_fmamk_f32 v3, v108, 0xbe11bafb, v109
	v_mul_f32_e32 v111, 0xbf4178ce, v38
	v_mul_f32_e32 v120, 0x3ed4b147, v32
	v_dual_mul_f32 v118, 0xbf75a155, v26 :: v_dual_fmamk_f32 v125, v69, 0xbf75a155, v124
	s_delay_alu instid0(VALU_DEP_3) | instskip(SKIP_1) | instid1(VALU_DEP_4)
	v_dual_add_f32 v0, v3, v0 :: v_dual_fmamk_f32 v3, v65, 0xbf27a4f4, v111
	v_fmamk_f32 v4, v12, 0xbf7d64f0, v105
	v_fmamk_f32 v122, v36, 0xbf68dda4, v120
	v_mul_f32_e32 v129, 0xbf27a4f4, v26
	s_delay_alu instid0(VALU_DEP_4) | instskip(SKIP_2) | instid1(VALU_DEP_4)
	v_dual_mul_f32 v128, 0xbf0a6770, v100 :: v_dual_add_f32 v3, v106, v3
	v_mul_f32_e32 v110, 0x3f575c64, v32
	v_add_f32_e32 v2, v4, v2
	v_fmamk_f32 v131, v12, 0x3f4178ce, v129
	s_delay_alu instid0(VALU_DEP_4) | instskip(NEXT) | instid1(VALU_DEP_4)
	v_dual_mul_f32 v130, 0xbf4178ce, v104 :: v_dual_add_f32 v5, v5, v3
	v_fmamk_f32 v4, v36, 0x3f0a6770, v110
	v_mul_f32_e32 v117, 0xbe903f40, v100
	v_mul_f32_e32 v112, 0xbf75a155, v6
	s_delay_alu instid0(VALU_DEP_4) | instskip(NEXT) | instid1(VALU_DEP_4)
	v_dual_fmamk_f32 v162, v108, 0xbf27a4f4, v130 :: v_dual_add_f32 v21, v21, v107
	v_dual_add_f32 v2, v4, v2 :: v_dual_mul_f32 v173, 0xbf4178ce, v68
	s_delay_alu instid0(VALU_DEP_3) | instskip(SKIP_1) | instid1(VALU_DEP_4)
	v_fmamk_f32 v4, v29, 0x3e903f40, v112
	v_mul_f32_e32 v115, 0xbf0a6770, v84
	v_dual_mul_f32 v170, 0xbe11bafb, v6 :: v_dual_add_f32 v21, v23, v21
	v_mul_f32_e32 v175, 0x3f575c64, v18
	s_delay_alu instid0(VALU_DEP_4) | instskip(SKIP_4) | instid1(VALU_DEP_4)
	v_add_f32_e32 v2, v4, v2
	v_mul_f32_e32 v114, 0x3ed4b147, v67
	v_dual_mul_f32 v26, 0x3ed4b147, v26 :: v_dual_add_f32 v13, v106, v13
	v_fmac_f32_e32 v24, 0xbe903f40, v25
	v_fmac_f32_e32 v110, 0xbf0a6770, v36
	v_fmamk_f32 v4, v85, 0xbf68dda4, v114
	v_fmac_f32_e32 v14, 0x3f68dda4, v29
	v_dual_add_f32 v13, v15, v13 :: v_dual_mul_f32 v174, 0x3e903f40, v84
	v_add_f32_e32 v15, v28, v21
	s_delay_alu instid0(VALU_DEP_4) | instskip(SKIP_1) | instid1(VALU_DEP_4)
	v_dual_add_f32 v3, v4, v2 :: v_dual_fmamk_f32 v2, v25, 0x3f7d64f0, v116
	v_fmamk_f32 v7, v86, 0x3f575c64, v115
	v_add_f32_e32 v9, v9, v13
	v_mul_f32_e32 v161, 0xbf75a155, v32
	v_mul_f32_e32 v32, 0xbe11bafb, v32
	v_add_f32_e32 v2, v107, v2
	v_dual_add_f32 v4, v7, v5 :: v_dual_fmamk_f32 v5, v102, 0xbf75a155, v117
	v_fmamk_f32 v7, v12, 0xbe903f40, v118
	v_mul_f32_e32 v177, 0x3f7d64f0, v100
	v_add_f32_e32 v13, v31, v15
	s_delay_alu instid0(VALU_DEP_4) | instskip(SKIP_4) | instid1(VALU_DEP_4)
	v_dual_add_f32 v9, v11, v9 :: v_dual_add_f32 v4, v5, v4
	v_fmamk_f32 v5, v108, 0x3ed4b147, v119
	v_mul_f32_e32 v121, 0xbf7d64f0, v38
	v_dual_add_f32 v7, v7, v2 :: v_dual_fmamk_f32 v178, v102, 0xbe11bafb, v177
	v_add_f32_e32 v10, v10, v13
	v_add_f32_e32 v2, v5, v4
	s_delay_alu instid0(VALU_DEP_4) | instskip(SKIP_1) | instid1(VALU_DEP_4)
	v_fmamk_f32 v4, v65, 0xbe11bafb, v121
	v_mul_f32_e32 v123, 0x3f575c64, v6
	v_dual_mul_f32 v31, 0xbf7d64f0, v84 :: v_dual_add_f32 v10, v37, v10
	v_fmac_f32_e32 v35, 0xbf4178ce, v36
	s_delay_alu instid0(VALU_DEP_4) | instskip(SKIP_1) | instid1(VALU_DEP_4)
	v_dual_add_f32 v4, v106, v4 :: v_dual_mul_f32 v127, 0x3ed4b147, v18
	v_fmac_f32_e32 v114, 0x3f68dda4, v85
	v_add_f32_e32 v8, v8, v10
	v_fmac_f32_e32 v16, 0x3f0a6770, v12
	s_delay_alu instid0(VALU_DEP_4)
	v_add_f32_e32 v4, v125, v4
	v_mul_f32_e32 v126, 0x3f68dda4, v84
	v_fmac_f32_e32 v112, 0xbe903f40, v29
	v_add_f32_e32 v8, v27, v8
	v_fmac_f32_e32 v118, 0x3e903f40, v12
	v_fmac_f32_e32 v120, 0x3f68dda4, v36
	v_fmamk_f32 v125, v86, 0x3ed4b147, v126
	s_delay_alu instid0(VALU_DEP_1) | instskip(SKIP_1) | instid1(VALU_DEP_2)
	v_dual_add_f32 v4, v125, v4 :: v_dual_fmamk_f32 v125, v102, 0x3f575c64, v128
	v_fmac_f32_e32 v129, 0xbf4178ce, v12
	v_dual_add_f32 v4, v125, v4 :: v_dual_mul_f32 v125, 0xbf68dda4, v38
	v_add_f32_e32 v5, v122, v7
	v_fmamk_f32 v7, v29, 0x3f0a6770, v123
	v_mul_f32_e32 v122, 0xbf27a4f4, v67
	s_delay_alu instid0(VALU_DEP_4) | instskip(SKIP_1) | instid1(VALU_DEP_4)
	v_add_f32_e32 v4, v162, v4
	v_fmamk_f32 v172, v65, 0x3ed4b147, v125
	v_dual_mul_f32 v38, 0xbf0a6770, v38 :: v_dual_add_f32 v5, v7, v5
	s_delay_alu instid0(VALU_DEP_4) | instskip(NEXT) | instid1(VALU_DEP_3)
	v_fmamk_f32 v7, v85, 0x3f4178ce, v122
	v_dual_fmac_f32 v123, 0xbf0a6770, v29 :: v_dual_add_f32 v162, v106, v172
	v_fmamk_f32 v172, v69, 0xbf27a4f4, v173
	s_delay_alu instid0(VALU_DEP_4) | instskip(NEXT) | instid1(VALU_DEP_4)
	v_fmamk_f32 v21, v65, 0x3f575c64, v38
	v_add_f32_e32 v5, v7, v5
	v_fmamk_f32 v7, v25, 0x3f68dda4, v127
	s_delay_alu instid0(VALU_DEP_4) | instskip(SKIP_2) | instid1(VALU_DEP_4)
	v_dual_fmac_f32 v127, 0xbf68dda4, v25 :: v_dual_add_f32 v18, v172, v162
	v_fmamk_f32 v162, v86, 0xbf75a155, v174
	v_add_f32_e32 v15, v106, v21
	v_add_f32_e32 v7, v107, v7
	v_fmac_f32_e32 v71, 0xbf7d64f0, v85
	v_fmac_f32_e32 v116, 0xbf7d64f0, v25
	v_add_f32_e32 v18, v162, v18
	s_delay_alu instid0(VALU_DEP_4) | instskip(SKIP_1) | instid1(VALU_DEP_3)
	v_dual_fmac_f32 v122, 0xbf4178ce, v85 :: v_dual_add_f32 v7, v131, v7
	v_fmamk_f32 v131, v36, 0xbe903f40, v161
	v_dual_fmac_f32 v161, 0x3e903f40, v36 :: v_dual_add_f32 v18, v178, v18
	s_delay_alu instid0(VALU_DEP_2) | instskip(SKIP_1) | instid1(VALU_DEP_1)
	v_dual_mul_f32 v178, 0xbf27a4f4, v6 :: v_dual_add_f32 v7, v131, v7
	v_fmamk_f32 v131, v29, 0xbf7d64f0, v170
	v_dual_fmac_f32 v170, 0x3f7d64f0, v29 :: v_dual_add_f32 v7, v131, v7
	v_mul_f32_e32 v131, 0x3f575c64, v67
	s_delay_alu instid0(VALU_DEP_1) | instskip(NEXT) | instid1(VALU_DEP_1)
	v_fmamk_f32 v176, v85, 0xbf0a6770, v131
	v_dual_add_f32 v7, v176, v7 :: v_dual_mul_f32 v176, 0x3f0a6770, v104
	s_delay_alu instid0(VALU_DEP_1) | instskip(SKIP_2) | instid1(VALU_DEP_3)
	v_fmamk_f32 v6, v108, 0x3f575c64, v176
	v_fmamk_f32 v172, v25, 0x3f0a6770, v175
	;; [unrolled: 1-line block ×3, first 2 shown]
	v_dual_fmac_f32 v175, 0xbf0a6770, v25 :: v_dual_add_f32 v6, v6, v18
	s_delay_alu instid0(VALU_DEP_3) | instskip(SKIP_2) | instid1(VALU_DEP_2)
	v_add_f32_e32 v162, v107, v172
	v_fmamk_f32 v172, v12, 0x3f68dda4, v26
	v_fmac_f32_e32 v26, 0xbf68dda4, v12
	v_add_f32_e32 v162, v172, v162
	v_fmamk_f32 v172, v36, 0x3f7d64f0, v32
	s_delay_alu instid0(VALU_DEP_1) | instskip(NEXT) | instid1(VALU_DEP_1)
	v_dual_add_f32 v162, v172, v162 :: v_dual_fmac_f32 v131, 0x3f0a6770, v85
	v_dual_add_f32 v18, v23, v162 :: v_dual_mul_f32 v23, 0xbf68dda4, v68
	s_delay_alu instid0(VALU_DEP_1) | instskip(NEXT) | instid1(VALU_DEP_1)
	v_fmamk_f32 v21, v69, 0x3ed4b147, v23
	v_add_f32_e32 v13, v21, v15
	v_fmamk_f32 v21, v86, 0xbe11bafb, v31
	v_mul_f32_e32 v37, 0xbf4178ce, v100
	v_dual_add_f32 v15, v39, v9 :: v_dual_fmac_f32 v32, 0xbf7d64f0, v36
	s_delay_alu instid0(VALU_DEP_2) | instskip(SKIP_2) | instid1(VALU_DEP_2)
	v_dual_add_f32 v10, v21, v13 :: v_dual_fmamk_f32 v13, v102, 0xbf27a4f4, v37
	v_mul_f32_e32 v21, 0xbe903f40, v104
	v_mul_f32_e32 v28, 0xbf75a155, v67
	v_dual_add_f32 v10, v13, v10 :: v_dual_fmamk_f32 v13, v108, 0xbf75a155, v21
	s_delay_alu instid0(VALU_DEP_2) | instskip(SKIP_2) | instid1(VALU_DEP_3)
	v_fmamk_f32 v11, v85, 0x3e903f40, v28
	v_fmac_f32_e32 v28, 0xbe903f40, v85
	v_fma_f32 v21, 0xbf75a155, v108, -v21
	v_add_f32_e32 v9, v11, v18
	v_add_f32_e32 v11, v64, v15
	v_dual_add_f32 v15, v22, v8 :: v_dual_add_f32 v8, v13, v10
	v_add_f32_e32 v18, v107, v24
	v_fma_f32 v13, 0xbf75a155, v65, -v66
	s_delay_alu instid0(VALU_DEP_4)
	v_add_f32_e32 v11, v34, v11
	v_fma_f32 v22, 0x3ed4b147, v86, -v126
	v_fma_f32 v24, 0xbf27a4f4, v108, -v130
	v_fmac_f32_e32 v178, 0xbf4178ce, v29
	v_add_f32_e32 v13, v106, v13
	v_add_f32_e32 v11, v30, v11
	s_delay_alu instid0(VALU_DEP_1)
	v_add_f32_e32 v10, v17, v11
	v_add_f32_e32 v11, v20, v15
	;; [unrolled: 1-line block ×3, first 2 shown]
	v_fma_f32 v20, 0xbf75a155, v69, -v124
	v_fmac_f32_e32 v105, 0x3f7d64f0, v12
	v_fma_f32 v16, 0x3f575c64, v69, -v70
	v_add_f32_e32 v10, v19, v10
	v_add_f32_e32 v15, v35, v15
	;; [unrolled: 1-line block ×3, first 2 shown]
	v_fma_f32 v18, 0xbe11bafb, v69, -v113
	v_add_f32_e32 v13, v16, v13
	v_fma_f32 v16, 0xbf27a4f4, v86, -v87
	v_dual_add_f32 v14, v14, v15 :: v_dual_fmac_f32 v101, 0xbf4178ce, v25
	v_add_f32_e32 v19, v118, v19
	v_add_f32_e32 v25, v107, v175
	s_delay_alu instid0(VALU_DEP_3) | instskip(NEXT) | instid1(VALU_DEP_4)
	v_dual_add_f32 v13, v16, v13 :: v_dual_add_f32 v14, v71, v14
	v_add_f32_e32 v17, v107, v101
	v_fma_f32 v16, 0x3ed4b147, v102, -v103
	v_add_f32_e32 v19, v120, v19
	s_delay_alu instid0(VALU_DEP_3) | instskip(SKIP_1) | instid1(VALU_DEP_3)
	v_add_f32_e32 v15, v105, v17
	v_fma_f32 v17, 0xbf27a4f4, v65, -v111
	v_add_f32_e32 v19, v123, v19
	v_add_f32_e32 v13, v16, v13
	v_fma_f32 v16, 0xbe11bafb, v108, -v109
	v_add_f32_e32 v15, v110, v15
	v_add_f32_e32 v17, v106, v17
	s_delay_alu instid0(VALU_DEP_3) | instskip(NEXT) | instid1(VALU_DEP_3)
	v_add_f32_e32 v13, v16, v13
	v_add_f32_e32 v15, v112, v15
	s_delay_alu instid0(VALU_DEP_3) | instskip(SKIP_1) | instid1(VALU_DEP_3)
	v_add_f32_e32 v17, v18, v17
	v_fma_f32 v18, 0x3f575c64, v86, -v115
	v_add_f32_e32 v16, v114, v15
	v_fma_f32 v15, 0xbe11bafb, v65, -v121
	s_delay_alu instid0(VALU_DEP_3) | instskip(SKIP_1) | instid1(VALU_DEP_3)
	v_add_f32_e32 v17, v18, v17
	v_fma_f32 v18, 0xbf75a155, v102, -v117
	v_add_f32_e32 v15, v106, v15
	s_delay_alu instid0(VALU_DEP_2) | instskip(SKIP_1) | instid1(VALU_DEP_1)
	v_add_f32_e32 v17, v18, v17
	v_fma_f32 v18, 0x3ed4b147, v108, -v119
	v_dual_add_f32 v20, v20, v15 :: v_dual_add_f32 v15, v18, v17
	v_fma_f32 v18, 0x3f575c64, v102, -v128
	s_delay_alu instid0(VALU_DEP_2) | instskip(SKIP_1) | instid1(VALU_DEP_2)
	v_add_f32_e32 v17, v22, v20
	v_fma_f32 v22, 0x3ed4b147, v65, -v125
	v_add_f32_e32 v17, v18, v17
	v_add_f32_e32 v18, v122, v19
	s_delay_alu instid0(VALU_DEP_3) | instskip(SKIP_1) | instid1(VALU_DEP_4)
	v_add_f32_e32 v19, v106, v22
	v_fma_f32 v22, 0xbf27a4f4, v69, -v173
	v_add_f32_e32 v17, v24, v17
	v_fma_f32 v24, 0x3f575c64, v65, -v38
	s_delay_alu instid0(VALU_DEP_3) | instskip(SKIP_1) | instid1(VALU_DEP_1)
	v_add_f32_e32 v19, v22, v19
	v_fma_f32 v22, 0xbf75a155, v86, -v174
	v_add_f32_e32 v12, v22, v19
	s_delay_alu instid0(VALU_DEP_4) | instskip(SKIP_4) | instid1(VALU_DEP_4)
	v_add_f32_e32 v19, v106, v24
	v_fma_f32 v22, 0x3ed4b147, v69, -v23
	v_add_f32_e32 v24, v26, v25
	v_fma_f32 v23, 0xbe11bafb, v102, -v177
	v_fma_f32 v25, 0x3f575c64, v108, -v176
	v_add_f32_e32 v19, v22, v19
	v_fma_f32 v22, 0xbe11bafb, v86, -v31
	s_delay_alu instid0(VALU_DEP_4) | instskip(SKIP_2) | instid1(VALU_DEP_4)
	v_add_f32_e32 v12, v23, v12
	v_add_f32_e32 v23, v32, v24
	v_mul_u32_u24_e32 v24, 22, v167
	v_add_f32_e32 v19, v22, v19
	v_fma_f32 v22, 0xbf27a4f4, v102, -v37
	s_delay_alu instid0(VALU_DEP_4) | instskip(NEXT) | instid1(VALU_DEP_4)
	v_add_f32_e32 v23, v178, v23
	v_or_b32_e32 v24, v24, v166
	s_delay_alu instid0(VALU_DEP_3) | instskip(SKIP_1) | instid1(VALU_DEP_3)
	v_add_f32_e32 v26, v22, v19
	v_add_f32_e32 v20, v107, v127
	v_lshl_add_u32 v24, v24, 3, v165
	v_dual_add_f32 v19, v25, v12 :: v_dual_add_f32 v22, v28, v23
	s_delay_alu instid0(VALU_DEP_4) | instskip(NEXT) | instid1(VALU_DEP_4)
	v_add_f32_e32 v21, v21, v26
	v_add_f32_e32 v20, v129, v20
	s_delay_alu instid0(VALU_DEP_1) | instskip(NEXT) | instid1(VALU_DEP_1)
	v_add_f32_e32 v20, v161, v20
	v_add_f32_e32 v20, v170, v20
	s_delay_alu instid0(VALU_DEP_1)
	v_add_f32_e32 v20, v131, v20
	ds_store_2addr_b64 v24, v[10:11], v[8:9] offset1:2
	ds_store_2addr_b64 v24, v[6:7], v[4:5] offset0:4 offset1:6
	ds_store_2addr_b64 v24, v[2:3], v[0:1] offset0:8 offset1:10
	;; [unrolled: 1-line block ×4, first 2 shown]
	ds_store_b64 v24, v[21:22] offset:160
.LBB0_9:
	s_wait_alu 0xfffe
	s_or_b32 exec_lo, exec_lo, s2
	global_wb scope:SCOPE_SE
	s_wait_dscnt 0x0
	s_barrier_signal -1
	s_barrier_wait -1
	global_inv scope:SCOPE_SE
	ds_load_2addr_b64 v[4:7], v164 offset0:154 offset1:231
	v_add_nc_u32_e32 v1, 0x800, v164
	v_add_nc_u32_e32 v3, 0xc00, v164
	;; [unrolled: 1-line block ×3, first 2 shown]
	s_mov_b32 s2, 0xdbe74d6b
	s_mov_b32 s3, 0x3f4e65a3
	s_wait_dscnt 0x0
	v_mul_f32_e32 v32, v61, v5
	ds_load_2addr_b64 v[8:11], v1 offset0:52 offset1:129
	v_mul_f32_e32 v34, v61, v4
	v_add_nc_u32_e32 v2, 0x1000, v164
	v_fmac_f32_e32 v32, v60, v4
	s_delay_alu instid0(VALU_DEP_3)
	v_fma_f32 v4, v60, v5, -v34
	s_wait_dscnt 0x0
	v_mul_f32_e32 v5, v63, v9
	ds_load_2addr_b64 v[12:15], v3 offset0:78 offset1:155
	ds_load_2addr_b64 v[16:19], v2 offset0:104 offset1:181
	ds_load_2addr_b64 v[20:23], v0 offset0:2 offset1:79
	v_mul_f32_e32 v34, v63, v8
	v_fmac_f32_e32 v5, v62, v8
	s_wait_dscnt 0x2
	v_mul_f32_e32 v35, v57, v13
	ds_load_2addr_b64 v[24:27], v0 offset0:156 offset1:233
	ds_load_2addr_b64 v[28:31], v164 offset1:77
	s_wait_dscnt 0x3
	v_mul_f32_e32 v37, v59, v17
	s_wait_dscnt 0x2
	v_dual_mul_f32 v38, v59, v16 :: v_dual_mul_f32 v39, v53, v21
	v_mul_f32_e32 v36, v57, v12
	v_fmac_f32_e32 v35, v56, v12
	v_fmac_f32_e32 v37, v58, v16
	s_delay_alu instid0(VALU_DEP_4)
	v_fma_f32 v12, v58, v17, -v38
	v_fmac_f32_e32 v39, v52, v20
	global_wb scope:SCOPE_SE
	s_wait_dscnt 0x0
	s_barrier_signal -1
	s_barrier_wait -1
	global_inv scope:SCOPE_SE
	v_mul_f32_e32 v16, v55, v25
	v_mul_f32_e32 v17, v55, v24
	s_delay_alu instid0(VALU_DEP_2) | instskip(SKIP_1) | instid1(VALU_DEP_1)
	v_fmac_f32_e32 v16, v54, v24
	v_mul_f32_e32 v24, v51, v11
	v_fmac_f32_e32 v24, v50, v10
	s_delay_alu instid0(VALU_DEP_4) | instskip(SKIP_3) | instid1(VALU_DEP_3)
	v_fma_f32 v17, v54, v25, -v17
	v_mul_f32_e32 v25, v45, v15
	v_fma_f32 v8, v62, v9, -v34
	v_mul_f32_e32 v34, v49, v6
	v_fmac_f32_e32 v25, v44, v14
	v_fma_f32 v9, v56, v13, -v36
	v_mul_f32_e32 v13, v53, v20
	v_mul_f32_e32 v20, v49, v7
	s_delay_alu instid0(VALU_DEP_1) | instskip(SKIP_1) | instid1(VALU_DEP_4)
	v_fmac_f32_e32 v20, v48, v6
	v_mul_f32_e32 v6, v51, v10
	v_fma_f32 v13, v52, v21, -v13
	v_fma_f32 v21, v48, v7, -v34
	v_dual_mul_f32 v7, v45, v14 :: v_dual_mul_f32 v34, v47, v19
	s_delay_alu instid0(VALU_DEP_4) | instskip(SKIP_2) | instid1(VALU_DEP_4)
	v_fma_f32 v36, v50, v11, -v6
	v_mul_f32_e32 v6, v47, v18
	v_dual_mul_f32 v10, v43, v26 :: v_dual_add_f32 v11, v5, v39
	v_fma_f32 v38, v44, v15, -v7
	v_fmac_f32_e32 v34, v46, v18
	v_mul_f32_e32 v18, v41, v23
	v_dual_mul_f32 v7, v41, v22 :: v_dual_add_f32 v14, v8, v13
	v_sub_f32_e32 v8, v8, v13
	s_delay_alu instid0(VALU_DEP_3) | instskip(SKIP_1) | instid1(VALU_DEP_4)
	v_dual_add_f32 v13, v35, v37 :: v_dual_fmac_f32 v18, v40, v22
	v_sub_f32_e32 v5, v5, v39
	v_fma_f32 v22, v40, v23, -v7
	v_add_f32_e32 v7, v4, v17
	v_fma_f32 v19, v46, v19, -v6
	v_dual_add_f32 v6, v32, v16 :: v_dual_mul_f32 v41, v43, v27
	v_fma_f32 v23, v42, v27, -v10
	s_delay_alu instid0(VALU_DEP_4) | instskip(SKIP_4) | instid1(VALU_DEP_3)
	v_dual_sub_f32 v10, v32, v16 :: v_dual_sub_f32 v27, v14, v7
	v_dual_sub_f32 v4, v4, v17 :: v_dual_add_f32 v15, v9, v12
	v_dual_sub_f32 v16, v37, v35 :: v_dual_sub_f32 v9, v12, v9
	v_dual_add_f32 v17, v14, v7 :: v_dual_add_f32 v12, v11, v6
	v_fmac_f32_e32 v41, v42, v26
	v_dual_sub_f32 v26, v11, v6 :: v_dual_sub_f32 v37, v16, v5
	v_dual_sub_f32 v11, v13, v11 :: v_dual_sub_f32 v6, v6, v13
	v_sub_f32_e32 v39, v9, v8
	v_dual_add_f32 v35, v9, v8 :: v_dual_add_f32 v32, v16, v5
	v_sub_f32_e32 v16, v10, v16
	v_dual_add_f32 v12, v13, v12 :: v_dual_add_f32 v13, v15, v17
	v_mul_f32_e32 v17, 0x3d64c772, v11
	v_sub_f32_e32 v7, v7, v15
	v_dual_sub_f32 v14, v15, v14 :: v_dual_sub_f32 v9, v4, v9
	v_sub_f32_e32 v40, v5, v10
	v_dual_sub_f32 v8, v8, v4 :: v_dual_add_f32 v5, v29, v13
	v_add_f32_e32 v15, v35, v4
	v_dual_add_f32 v4, v28, v12 :: v_dual_mul_f32 v7, 0x3f4a47b2, v7
	v_dual_add_f32 v10, v32, v10 :: v_dual_mul_f32 v29, 0x3f08b237, v37
	s_delay_alu instid0(VALU_DEP_2) | instskip(SKIP_3) | instid1(VALU_DEP_3)
	v_dual_fmamk_f32 v13, v13, 0xbf955555, v5 :: v_dual_fmamk_f32 v12, v12, 0xbf955555, v4
	v_mul_f32_e32 v6, 0x3f4a47b2, v6
	v_mul_f32_e32 v28, 0x3d64c772, v14
	v_fma_f32 v17, 0x3f3bfb3b, v26, -v17
	v_fmamk_f32 v11, v11, 0x3d64c772, v6
	s_delay_alu instid0(VALU_DEP_3)
	v_fma_f32 v28, 0x3f3bfb3b, v27, -v28
	v_fmamk_f32 v14, v14, 0x3d64c772, v7
	v_mul_f32_e32 v32, 0x3f08b237, v39
	v_fma_f32 v6, 0xbf3bfb3b, v26, -v6
	v_fma_f32 v7, 0xbf3bfb3b, v27, -v7
	v_mul_f32_e32 v35, 0xbf5ff5aa, v40
	v_dual_add_f32 v39, v14, v13 :: v_dual_fmamk_f32 v26, v16, 0xbeae86e6, v29
	v_fmamk_f32 v27, v9, 0xbeae86e6, v32
	v_fma_f32 v29, 0xbf5ff5aa, v40, -v29
	v_fma_f32 v32, 0xbf5ff5aa, v8, -v32
	v_add_f32_e32 v40, v7, v13
	v_fma_f32 v16, 0x3eae86e6, v16, -v35
	v_dual_fmac_f32 v26, 0xbee1c552, v10 :: v_dual_fmac_f32 v27, 0xbee1c552, v15
	v_fmac_f32_e32 v29, 0xbee1c552, v10
	s_delay_alu instid0(VALU_DEP_2) | instskip(SKIP_4) | instid1(VALU_DEP_4)
	v_dual_sub_f32 v7, v39, v26 :: v_dual_add_f32 v14, v17, v12
	v_dual_add_f32 v17, v28, v13 :: v_dual_add_f32 v28, v6, v12
	v_fmac_f32_e32 v16, 0xbee1c552, v10
	v_fmac_f32_e32 v32, 0xbee1c552, v15
	v_mul_f32_e32 v37, 0xbf5ff5aa, v8
	v_sub_f32_e32 v13, v17, v29
	s_delay_alu instid0(VALU_DEP_2) | instskip(SKIP_3) | instid1(VALU_DEP_4)
	v_fma_f32 v35, 0x3eae86e6, v9, -v37
	v_add_f32_e32 v37, v11, v12
	v_add_f32_e32 v11, v29, v17
	v_sub_f32_e32 v9, v40, v16
	v_dual_add_f32 v12, v32, v14 :: v_dual_fmac_f32 v35, 0xbee1c552, v15
	s_delay_alu instid0(VALU_DEP_4) | instskip(SKIP_2) | instid1(VALU_DEP_4)
	v_dual_add_f32 v6, v27, v37 :: v_dual_add_f32 v15, v16, v40
	v_sub_f32_e32 v10, v14, v32
	v_sub_f32_e32 v16, v37, v27
	v_add_f32_e32 v8, v35, v28
	v_sub_f32_e32 v14, v28, v35
	v_dual_add_f32 v17, v26, v39 :: v_dual_add_f32 v26, v20, v41
	v_dual_add_f32 v27, v21, v23 :: v_dual_sub_f32 v20, v20, v41
	v_sub_f32_e32 v21, v21, v23
	v_add_f32_e32 v23, v24, v18
	v_dual_add_f32 v28, v36, v22 :: v_dual_add_f32 v29, v38, v19
	v_sub_f32_e32 v18, v24, v18
	v_dual_add_f32 v24, v25, v34 :: v_dual_sub_f32 v25, v34, v25
	s_delay_alu instid0(VALU_DEP_3)
	v_dual_sub_f32 v19, v19, v38 :: v_dual_add_f32 v34, v28, v27
	v_sub_f32_e32 v22, v36, v22
	v_dual_sub_f32 v35, v23, v26 :: v_dual_sub_f32 v36, v28, v27
	v_sub_f32_e32 v27, v27, v29
	v_dual_add_f32 v37, v25, v18 :: v_dual_sub_f32 v42, v18, v20
	v_sub_f32_e32 v39, v25, v18
	v_dual_sub_f32 v25, v20, v25 :: v_dual_add_f32 v32, v23, v26
	v_dual_sub_f32 v23, v24, v23 :: v_dual_sub_f32 v26, v26, v24
	v_dual_sub_f32 v41, v21, v19 :: v_dual_add_f32 v38, v19, v22
	v_dual_mul_f32 v27, 0x3f4a47b2, v27 :: v_dual_sub_f32 v28, v29, v28
	v_sub_f32_e32 v40, v19, v22
	v_dual_add_f32 v24, v24, v32 :: v_dual_add_f32 v29, v29, v34
	v_sub_f32_e32 v22, v22, v21
	v_dual_add_f32 v20, v37, v20 :: v_dual_mul_f32 v37, 0xbf5ff5aa, v42
	v_add_f32_e32 v21, v38, v21
	s_delay_alu instid0(VALU_DEP_4) | instskip(SKIP_1) | instid1(VALU_DEP_4)
	v_dual_add_f32 v19, v31, v29 :: v_dual_add_f32 v18, v30, v24
	v_mul_f32_e32 v31, 0x3d64c772, v28
	v_fma_f32 v37, 0x3eae86e6, v25, -v37
	v_fmamk_f32 v28, v28, 0x3d64c772, v27
	s_delay_alu instid0(VALU_DEP_4)
	v_fmamk_f32 v29, v29, 0xbf955555, v19
	v_fma_f32 v27, 0xbf3bfb3b, v36, -v27
	v_mul_f32_e32 v34, 0x3f08b237, v40
	v_fmac_f32_e32 v37, 0xbee1c552, v20
	v_fmamk_f32 v24, v24, 0xbf955555, v18
	v_mul_f32_e32 v26, 0x3f4a47b2, v26
	v_mul_f32_e32 v30, 0x3d64c772, v23
	v_fma_f32 v31, 0x3f3bfb3b, v36, -v31
	v_mul_f32_e32 v32, 0x3f08b237, v39
	s_delay_alu instid0(VALU_DEP_4) | instskip(NEXT) | instid1(VALU_DEP_4)
	v_dual_add_f32 v40, v28, v29 :: v_dual_fmamk_f32 v23, v23, 0x3d64c772, v26
	v_fma_f32 v30, 0x3f3bfb3b, v35, -v30
	s_delay_alu instid0(VALU_DEP_2) | instskip(SKIP_1) | instid1(VALU_DEP_3)
	v_add_f32_e32 v39, v23, v24
	v_fma_f32 v26, 0xbf3bfb3b, v35, -v26
	v_add_f32_e32 v28, v30, v24
	v_add_f32_e32 v30, v31, v29
	v_dual_add_f32 v29, v27, v29 :: v_dual_fmamk_f32 v36, v41, 0xbeae86e6, v34
	v_fma_f32 v34, 0xbf5ff5aa, v22, -v34
	s_delay_alu instid0(VALU_DEP_2) | instskip(NEXT) | instid1(VALU_DEP_2)
	v_fmac_f32_e32 v36, 0xbee1c552, v21
	v_fmac_f32_e32 v34, 0xbee1c552, v21
	s_delay_alu instid0(VALU_DEP_4)
	v_sub_f32_e32 v23, v29, v37
	v_add_f32_e32 v31, v26, v24
	v_fmamk_f32 v35, v25, 0xbeae86e6, v32
	v_fma_f32 v32, 0xbf5ff5aa, v42, -v32
	v_dual_add_f32 v29, v37, v29 :: v_dual_sub_f32 v24, v28, v34
	v_add_f32_e32 v26, v34, v28
	s_delay_alu instid0(VALU_DEP_4) | instskip(SKIP_2) | instid1(VALU_DEP_2)
	v_fmac_f32_e32 v35, 0xbee1c552, v20
	v_mul_f32_e32 v38, 0xbf5ff5aa, v22
	v_fmac_f32_e32 v32, 0xbee1c552, v20
	v_fma_f32 v38, 0x3eae86e6, v41, -v38
	s_delay_alu instid0(VALU_DEP_2) | instskip(NEXT) | instid1(VALU_DEP_2)
	v_add_f32_e32 v25, v32, v30
	v_dual_sub_f32 v27, v30, v32 :: v_dual_fmac_f32 v38, 0xbee1c552, v21
	v_sub_f32_e32 v21, v40, v35
	s_delay_alu instid0(VALU_DEP_2)
	v_add_f32_e32 v22, v38, v31
	v_sub_f32_e32 v28, v31, v38
	v_dual_add_f32 v31, v35, v40 :: v_dual_add_f32 v20, v36, v39
	v_sub_f32_e32 v30, v39, v36
	ds_store_2addr_b64 v169, v[4:5], v[6:7] offset1:22
	ds_store_2addr_b64 v169, v[8:9], v[10:11] offset0:44 offset1:66
	ds_store_2addr_b64 v169, v[12:13], v[14:15] offset0:88 offset1:110
	ds_store_b64 v169, v[16:17] offset:1056
	ds_store_2addr_b64 v168, v[18:19], v[20:21] offset1:22
	ds_store_2addr_b64 v168, v[22:23], v[24:25] offset0:44 offset1:66
	ds_store_2addr_b64 v168, v[26:27], v[28:29] offset0:88 offset1:110
	ds_store_b64 v168, v[30:31] offset:1056
	global_wb scope:SCOPE_SE
	s_wait_dscnt 0x0
	s_barrier_signal -1
	s_barrier_wait -1
	global_inv scope:SCOPE_SE
	ds_load_2addr_b64 v[4:7], v164 offset0:154 offset1:231
	ds_load_2addr_b64 v[8:11], v1 offset0:52 offset1:129
	;; [unrolled: 1-line block ×6, first 2 shown]
	ds_load_2addr_b64 v[28:31], v164 offset1:77
	s_wait_dscnt 0x6
	v_mul_f32_e32 v32, v97, v5
	s_wait_dscnt 0x5
	v_dual_mul_f32 v34, v97, v4 :: v_dual_mul_f32 v35, v99, v9
	s_wait_dscnt 0x2
	v_dual_mul_f32 v36, v99, v8 :: v_dual_mul_f32 v37, v73, v21
	s_wait_dscnt 0x1
	s_delay_alu instid0(VALU_DEP_2) | instskip(NEXT) | instid1(VALU_DEP_2)
	v_dual_mul_f32 v40, v79, v27 :: v_dual_fmac_f32 v35, v98, v8
	v_dual_mul_f32 v8, v89, v13 :: v_dual_fmac_f32 v37, v72, v20
	v_fmac_f32_e32 v32, v96, v4
	v_fma_f32 v4, v96, v5, -v34
	v_fma_f32 v5, v98, v9, -v36
	v_mul_f32_e32 v9, v89, v12
	v_mul_f32_e32 v36, v91, v16
	;; [unrolled: 1-line block ×3, first 2 shown]
	v_fmac_f32_e32 v8, v88, v12
	v_fmac_f32_e32 v40, v78, v26
	v_fma_f32 v9, v88, v13, -v9
	v_fma_f32 v12, v90, v17, -v36
	v_mul_f32_e32 v13, v73, v20
	v_dual_mul_f32 v17, v75, v24 :: v_dual_mul_f32 v36, v93, v6
	v_mul_f32_e32 v20, v93, v7
	s_delay_alu instid0(VALU_DEP_3)
	v_fma_f32 v13, v72, v21, -v13
	v_fmac_f32_e32 v34, v90, v16
	v_mul_f32_e32 v16, v75, v25
	v_fma_f32 v17, v74, v25, -v17
	v_fma_f32 v21, v92, v7, -v36
	v_mul_f32_e32 v25, v81, v15
	v_dual_mul_f32 v7, v81, v14 :: v_dual_mul_f32 v36, v83, v19
	s_delay_alu instid0(VALU_DEP_2) | instskip(NEXT) | instid1(VALU_DEP_2)
	v_fmac_f32_e32 v25, v80, v14
	v_fma_f32 v39, v80, v15, -v7
	v_add_f32_e32 v14, v5, v13
	v_sub_f32_e32 v15, v35, v37
	v_dual_sub_f32 v5, v5, v13 :: v_dual_fmac_f32 v20, v92, v6
	v_dual_add_f32 v13, v8, v34 :: v_dual_sub_f32 v8, v34, v8
	v_mul_f32_e32 v6, v95, v10
	v_fmac_f32_e32 v36, v82, v18
	v_dual_mul_f32 v7, v77, v22 :: v_dual_fmac_f32 v16, v74, v24
	s_delay_alu instid0(VALU_DEP_3) | instskip(SKIP_2) | instid1(VALU_DEP_2)
	v_fma_f32 v38, v94, v11, -v6
	v_mul_f32_e32 v6, v83, v18
	v_mul_f32_e32 v18, v77, v23
	v_fma_f32 v19, v82, v19, -v6
	s_delay_alu instid0(VALU_DEP_2)
	v_fmac_f32_e32 v18, v76, v22
	v_fma_f32 v22, v76, v23, -v7
	v_add_f32_e32 v7, v4, v17
	v_sub_f32_e32 v4, v4, v17
	v_mul_f32_e32 v24, v95, v11
	v_dual_add_f32 v11, v35, v37 :: v_dual_add_f32 v6, v32, v16
	s_delay_alu instid0(VALU_DEP_4) | instskip(NEXT) | instid1(VALU_DEP_3)
	v_add_f32_e32 v17, v14, v7
	v_fmac_f32_e32 v24, v94, v10
	v_mul_f32_e32 v10, v79, v26
	s_delay_alu instid0(VALU_DEP_4) | instskip(NEXT) | instid1(VALU_DEP_2)
	v_sub_f32_e32 v26, v11, v6
	v_fma_f32 v23, v78, v27, -v10
	v_sub_f32_e32 v10, v32, v16
	v_dual_add_f32 v16, v9, v12 :: v_dual_sub_f32 v9, v12, v9
	v_dual_add_f32 v12, v11, v6 :: v_dual_sub_f32 v27, v14, v7
	s_delay_alu instid0(VALU_DEP_2) | instskip(SKIP_1) | instid1(VALU_DEP_3)
	v_dual_sub_f32 v6, v6, v13 :: v_dual_sub_f32 v7, v7, v16
	v_sub_f32_e32 v11, v13, v11
	v_dual_add_f32 v12, v13, v12 :: v_dual_add_f32 v13, v16, v17
	v_sub_f32_e32 v14, v16, v14
	v_add_f32_e32 v34, v9, v5
	v_sub_f32_e32 v37, v9, v5
	v_sub_f32_e32 v16, v5, v4
	s_wait_dscnt 0x0
	v_add_f32_e32 v5, v29, v13
	v_mul_f32_e32 v7, 0x3f4a47b2, v7
	v_sub_f32_e32 v9, v4, v9
	v_add_f32_e32 v17, v34, v4
	v_mul_f32_e32 v29, 0x3d64c772, v14
	v_mul_f32_e32 v34, 0x3f08b237, v37
	v_mul_f32_e32 v37, 0xbf5ff5aa, v16
	v_fmamk_f32 v13, v13, 0xbf955555, v5
	v_fmamk_f32 v14, v14, 0x3d64c772, v7
	v_fma_f32 v7, 0xbf3bfb3b, v27, -v7
	v_mul_f32_e32 v6, 0x3f4a47b2, v6
	v_fma_f32 v29, 0x3f3bfb3b, v27, -v29
	v_fmamk_f32 v27, v9, 0xbeae86e6, v34
	v_fma_f32 v16, 0xbf5ff5aa, v16, -v34
	v_fma_f32 v34, 0x3eae86e6, v9, -v37
	v_add_f32_e32 v37, v14, v13
	v_dual_add_f32 v41, v7, v13 :: v_dual_add_f32 v32, v8, v15
	v_sub_f32_e32 v35, v8, v15
	v_add_f32_e32 v4, v28, v12
	v_dual_mul_f32 v28, 0x3d64c772, v11 :: v_dual_fmamk_f32 v11, v11, 0x3d64c772, v6
	v_dual_sub_f32 v8, v10, v8 :: v_dual_sub_f32 v15, v15, v10
	v_add_f32_e32 v10, v32, v10
	v_mul_f32_e32 v32, 0x3f08b237, v35
	s_delay_alu instid0(VALU_DEP_4)
	v_fma_f32 v28, 0x3f3bfb3b, v26, -v28
	v_fma_f32 v6, 0xbf3bfb3b, v26, -v6
	v_mul_f32_e32 v35, 0xbf5ff5aa, v15
	v_fmac_f32_e32 v27, 0xbee1c552, v17
	v_fmamk_f32 v26, v8, 0xbeae86e6, v32
	v_fmac_f32_e32 v34, 0xbee1c552, v17
	v_fmac_f32_e32 v16, 0xbee1c552, v17
	v_fma_f32 v15, 0xbf5ff5aa, v15, -v32
	v_fma_f32 v32, 0x3eae86e6, v8, -v35
	v_fmac_f32_e32 v26, 0xbee1c552, v10
	s_delay_alu instid0(VALU_DEP_3) | instskip(NEXT) | instid1(VALU_DEP_2)
	v_fmac_f32_e32 v15, 0xbee1c552, v10
	v_dual_fmac_f32 v32, 0xbee1c552, v10 :: v_dual_add_f32 v17, v26, v37
	v_dual_fmamk_f32 v12, v12, 0xbf955555, v4 :: v_dual_sub_f32 v7, v37, v26
	v_add_f32_e32 v26, v20, v40
	v_sub_f32_e32 v20, v20, v40
	s_delay_alu instid0(VALU_DEP_4) | instskip(NEXT) | instid1(VALU_DEP_4)
	v_sub_f32_e32 v9, v41, v32
	v_add_f32_e32 v35, v11, v12
	v_add_f32_e32 v14, v28, v12
	v_dual_add_f32 v28, v29, v13 :: v_dual_add_f32 v29, v6, v12
	s_delay_alu instid0(VALU_DEP_3) | instskip(NEXT) | instid1(VALU_DEP_3)
	v_add_f32_e32 v6, v27, v35
	v_sub_f32_e32 v10, v14, v16
	v_add_f32_e32 v12, v16, v14
	v_sub_f32_e32 v16, v35, v27
	;; [unrolled: 2-line block ×4, first 2 shown]
	v_dual_add_f32 v24, v25, v36 :: v_dual_sub_f32 v25, v36, v25
	v_add_f32_e32 v11, v15, v28
	v_sub_f32_e32 v13, v28, v15
	v_dual_add_f32 v15, v32, v41 :: v_dual_add_f32 v32, v23, v26
	s_delay_alu instid0(VALU_DEP_4) | instskip(SKIP_2) | instid1(VALU_DEP_3)
	v_dual_sub_f32 v35, v23, v26 :: v_dual_sub_f32 v26, v26, v24
	v_dual_add_f32 v37, v25, v18 :: v_dual_sub_f32 v42, v18, v20
	v_dual_add_f32 v8, v34, v29 :: v_dual_sub_f32 v23, v24, v23
	v_mul_f32_e32 v26, 0x3f4a47b2, v26
	v_dual_sub_f32 v14, v29, v34 :: v_dual_add_f32 v29, v39, v19
	v_sub_f32_e32 v19, v19, v39
	v_sub_f32_e32 v39, v25, v18
	v_dual_sub_f32 v25, v20, v25 :: v_dual_add_f32 v20, v37, v20
	v_mul_f32_e32 v37, 0xbf5ff5aa, v42
	s_delay_alu instid0(VALU_DEP_4) | instskip(NEXT) | instid1(VALU_DEP_2)
	v_sub_f32_e32 v41, v21, v19
	v_fma_f32 v37, 0x3eae86e6, v25, -v37
	s_delay_alu instid0(VALU_DEP_1) | instskip(SKIP_2) | instid1(VALU_DEP_2)
	v_fmac_f32_e32 v37, 0xbee1c552, v20
	v_add_f32_e32 v24, v24, v32
	v_mul_f32_e32 v32, 0x3f08b237, v39
	v_add_f32_e32 v18, v30, v24
	v_dual_mul_f32 v30, 0x3d64c772, v23 :: v_dual_fmamk_f32 v23, v23, 0x3d64c772, v26
	v_fma_f32 v26, 0xbf3bfb3b, v35, -v26
	s_delay_alu instid0(VALU_DEP_3) | instskip(SKIP_1) | instid1(VALU_DEP_4)
	v_fmamk_f32 v24, v24, 0xbf955555, v18
	v_add_f32_e32 v28, v38, v22
	v_fma_f32 v30, 0x3f3bfb3b, v35, -v30
	v_fmamk_f32 v35, v25, 0xbeae86e6, v32
	v_fma_f32 v32, 0xbf5ff5aa, v42, -v32
	v_dual_add_f32 v39, v23, v24 :: v_dual_sub_f32 v22, v38, v22
	s_delay_alu instid0(VALU_DEP_3) | instskip(NEXT) | instid1(VALU_DEP_3)
	v_dual_sub_f32 v36, v28, v27 :: v_dual_fmac_f32 v35, 0xbee1c552, v20
	v_fmac_f32_e32 v32, 0xbee1c552, v20
	v_dual_add_f32 v34, v28, v27 :: v_dual_sub_f32 v27, v27, v29
	v_sub_f32_e32 v28, v29, v28
	v_add_f32_e32 v38, v19, v22
	v_sub_f32_e32 v40, v19, v22
	s_delay_alu instid0(VALU_DEP_4) | instskip(SKIP_1) | instid1(VALU_DEP_2)
	v_add_f32_e32 v29, v29, v34
	v_mul_f32_e32 v27, 0x3f4a47b2, v27
	v_dual_mul_f32 v34, 0x3f08b237, v40 :: v_dual_add_f32 v19, v31, v29
	s_delay_alu instid0(VALU_DEP_2) | instskip(SKIP_1) | instid1(VALU_DEP_3)
	v_dual_mul_f32 v31, 0x3d64c772, v28 :: v_dual_fmamk_f32 v28, v28, 0x3d64c772, v27
	v_fma_f32 v27, 0xbf3bfb3b, v36, -v27
	v_fmamk_f32 v29, v29, 0xbf955555, v19
	s_delay_alu instid0(VALU_DEP_3) | instskip(SKIP_1) | instid1(VALU_DEP_3)
	v_fma_f32 v31, 0x3f3bfb3b, v36, -v31
	v_fmamk_f32 v36, v41, 0xbeae86e6, v34
	v_add_f32_e32 v40, v28, v29
	v_sub_f32_e32 v22, v22, v21
	v_add_f32_e32 v21, v38, v21
	v_add_f32_e32 v28, v30, v24
	v_dual_add_f32 v30, v31, v29 :: v_dual_add_f32 v31, v26, v24
	s_delay_alu instid0(VALU_DEP_4) | instskip(SKIP_2) | instid1(VALU_DEP_4)
	v_mul_f32_e32 v38, 0xbf5ff5aa, v22
	v_fma_f32 v34, 0xbf5ff5aa, v22, -v34
	v_add_f32_e32 v29, v27, v29
	v_dual_fmac_f32 v36, 0xbee1c552, v21 :: v_dual_add_f32 v25, v32, v30
	s_delay_alu instid0(VALU_DEP_4) | instskip(NEXT) | instid1(VALU_DEP_4)
	v_fma_f32 v38, 0x3eae86e6, v41, -v38
	v_dual_fmac_f32 v34, 0xbee1c552, v21 :: v_dual_sub_f32 v27, v30, v32
	v_add_nc_u32_e32 v32, 0x400, v164
	s_delay_alu instid0(VALU_DEP_4) | instskip(NEXT) | instid1(VALU_DEP_4)
	v_add_f32_e32 v20, v36, v39
	v_fmac_f32_e32 v38, 0xbee1c552, v21
	s_delay_alu instid0(VALU_DEP_4)
	v_sub_f32_e32 v24, v28, v34
	v_add_f32_e32 v26, v34, v28
	v_add_nc_u32_e32 v34, 0x1200, v171
	v_sub_f32_e32 v21, v40, v35
	v_dual_add_f32 v22, v38, v31 :: v_dual_sub_f32 v23, v29, v37
	ds_store_2addr_b64 v32, v[6:7], v[8:9] offset0:26 offset1:180
	ds_store_b64 v164, v[4:5]
	ds_store_b64 v164, v[10:11] offset:3696
	ds_store_2addr_b64 v34, v[12:13], v[14:15] offset0:40 offset1:194
	v_add_nc_u32_e32 v4, 0x400, v33
	v_dual_sub_f32 v28, v31, v38 :: v_dual_add_nc_u32 v5, 0xc00, v33
	v_dual_add_f32 v29, v37, v29 :: v_dual_sub_f32 v30, v39, v36
	v_dual_add_f32 v31, v35, v40 :: v_dual_add_nc_u32 v6, 0x1800, v33
	ds_store_b64 v171, v[16:17] offset:7392
	ds_store_b64 v164, v[18:19] offset:616
	ds_store_2addr_b64 v4, v[20:21], v[22:23] offset0:26 offset1:180
	ds_store_2addr_b64 v5, v[24:25], v[26:27] offset0:78 offset1:232
	;; [unrolled: 1-line block ×3, first 2 shown]
	global_wb scope:SCOPE_SE
	s_wait_dscnt 0x0
	s_barrier_signal -1
	s_barrier_wait -1
	global_inv scope:SCOPE_SE
	ds_load_2addr_b64 v[4:7], v164 offset1:77
	ds_load_2addr_b64 v[8:11], v3 offset0:78 offset1:155
	v_mad_co_u64_u32 v[20:21], null, s6, v146, 0
	v_mad_co_u64_u32 v[22:23], null, s4, v163, 0
	s_wait_dscnt 0x1
	v_mul_f32_e32 v12, v160, v4
	v_mul_f32_e32 v3, v160, v5
	s_wait_dscnt 0x0
	v_dual_mul_f32 v14, v156, v10 :: v_dual_mul_f32 v15, v158, v7
	v_mul_f32_e32 v16, v158, v6
	v_fma_f32 v5, v159, v5, -v12
	v_fmac_f32_e32 v3, v159, v4
	s_delay_alu instid0(VALU_DEP_4)
	v_fma_f32 v14, v155, v11, -v14
	v_fmac_f32_e32 v15, v157, v6
	v_fma_f32 v7, v157, v7, -v16
	v_cvt_f64_f32_e32 v[12:13], v5
	v_cvt_f64_f32_e32 v[3:4], v3
	v_mul_f32_e32 v5, v156, v11
	v_mul_f32_e32 v48, v148, v9
	v_cvt_f64_f32_e32 v[16:17], v7
	v_mul_f32_e32 v49, v148, v8
	s_delay_alu instid0(VALU_DEP_4) | instskip(NEXT) | instid1(VALU_DEP_4)
	v_fmac_f32_e32 v5, v155, v10
	v_fmac_f32_e32 v48, v147, v8
	s_delay_alu instid0(VALU_DEP_3) | instskip(NEXT) | instid1(VALU_DEP_3)
	v_fma_f32 v8, v147, v9, -v49
	v_cvt_f64_f32_e32 v[10:11], v5
	v_cvt_f64_f32_e32 v[5:6], v14
	;; [unrolled: 1-line block ×3, first 2 shown]
	s_delay_alu instid0(VALU_DEP_4)
	v_cvt_f64_f32_e32 v[8:9], v8
	s_wait_alu 0xfffe
	v_mul_f64_e32 v[12:13], s[2:3], v[12:13]
	v_mul_f64_e32 v[18:19], s[2:3], v[3:4]
	v_mov_b32_e32 v3, v21
	v_mul_f64_e32 v[16:17], s[2:3], v[16:17]
	s_delay_alu instid0(VALU_DEP_2)
	v_mad_co_u64_u32 v[26:27], null, s7, v146, v[3:4]
	s_movk_i32 s6, 0xf190
	s_mov_b32 s7, -1
	v_mul_f64_e32 v[24:25], s[2:3], v[10:11]
	v_mul_f64_e32 v[6:7], s[2:3], v[5:6]
	;; [unrolled: 1-line block ×3, first 2 shown]
	v_mov_b32_e32 v10, v23
	ds_load_2addr_b64 v[2:5], v2 offset0:104 offset1:181
	v_mov_b32_e32 v21, v26
	v_mul_f64_e32 v[8:9], s[2:3], v[8:9]
	v_mad_co_u64_u32 v[10:11], null, s5, v163, v[10:11]
	s_delay_alu instid0(VALU_DEP_3) | instskip(NEXT) | instid1(VALU_DEP_2)
	v_lshlrev_b64_e32 v[20:21], 3, v[20:21]
	v_mov_b32_e32 v23, v10
	s_delay_alu instid0(VALU_DEP_2) | instskip(SKIP_1) | instid1(VALU_DEP_3)
	v_add_co_u32 v20, vcc_lo, s0, v20
	s_wait_alu 0xfffd
	v_add_co_ci_u32_e32 v21, vcc_lo, s1, v21, vcc_lo
	s_mul_u64 s[0:1], s[4:5], 0x10d8
	s_wait_alu 0xfffe
	s_mul_u64 s[4:5], s[4:5], s[6:7]
	s_wait_dscnt 0x0
	v_mul_f32_e32 v28, v154, v3
	v_mul_f32_e32 v29, v154, v2
	v_cvt_f32_f64_e32 v27, v[12:13]
	ds_load_2addr_b64 v[10:13], v164 offset0:154 offset1:231
	v_cvt_f32_f64_e32 v26, v[18:19]
	v_lshlrev_b64_e32 v[18:19], 3, v[22:23]
	v_fmac_f32_e32 v28, v153, v2
	v_fma_f32 v2, v153, v3, -v29
	v_mul_f32_e32 v3, v150, v5
	v_mul_f32_e32 v32, v150, v4
	v_add_co_u32 v22, vcc_lo, v20, v18
	s_wait_alu 0xfffd
	v_add_co_ci_u32_e32 v23, vcc_lo, v21, v19, vcc_lo
	v_cvt_f64_f32_e32 v[30:31], v2
	ds_load_2addr_b64 v[18:21], v1 offset0:52 offset1:129
	v_cvt_f32_f64_e32 v24, v[24:25]
	v_cvt_f32_f64_e32 v25, v[6:7]
	;; [unrolled: 1-line block ×4, first 2 shown]
	ds_load_2addr_b64 v[14:17], v0 offset0:2 offset1:79
	v_fmac_f32_e32 v3, v149, v4
	s_wait_dscnt 0x2
	v_mul_f32_e32 v1, v141, v11
	v_mul_f32_e32 v2, v141, v10
	v_fma_f32 v34, v149, v5, -v32
	v_mul_f32_e32 v36, v133, v13
	v_cvt_f64_f32_e32 v[32:33], v3
	v_fmac_f32_e32 v1, v140, v10
	v_fma_f32 v2, v140, v11, -v2
	v_cvt_f64_f32_e32 v[28:29], v28
	v_fmac_f32_e32 v36, v132, v12
	v_mul_f32_e32 v12, v133, v12
	v_cvt_f64_f32_e32 v[4:5], v1
	v_cvt_f64_f32_e32 v[10:11], v2
	ds_load_2addr_b64 v[0:3], v0 offset0:156 offset1:233
	s_wait_dscnt 0x2
	v_mul_f32_e32 v45, v143, v20
	v_fma_f32 v12, v132, v13, -v12
	v_cvt_f64_f32_e32 v[34:35], v34
	v_cvt_f64_f32_e32 v[36:37], v36
	v_mul_f32_e32 v40, v145, v19
	s_wait_dscnt 0x1
	v_mul_f32_e32 v38, v135, v15
	v_mul_f32_e32 v39, v135, v14
	;; [unrolled: 1-line block ×3, first 2 shown]
	v_cvt_f64_f32_e32 v[12:13], v12
	v_mul_f32_e32 v42, v139, v17
	v_fmac_f32_e32 v38, v134, v14
	v_fma_f32 v39, v134, v15, -v39
	v_mul_f32_e32 v43, v139, v16
	v_mul_f32_e32 v44, v143, v21
	v_fmac_f32_e32 v40, v144, v18
	v_fma_f32 v41, v144, v19, -v41
	v_cvt_f64_f32_e32 v[14:15], v38
	v_cvt_f64_f32_e32 v[18:19], v39
	v_fmac_f32_e32 v42, v138, v16
	s_wait_dscnt 0x0
	v_mul_f32_e32 v46, v137, v1
	v_mul_f32_e32 v50, v152, v3
	;; [unrolled: 1-line block ×3, first 2 shown]
	v_fma_f32 v43, v138, v17, -v43
	v_fmac_f32_e32 v44, v142, v20
	v_fmac_f32_e32 v46, v136, v0
	v_mul_f32_e32 v0, v137, v0
	v_fma_f32 v45, v142, v21, -v45
	v_cvt_f64_f32_e32 v[38:39], v40
	v_cvt_f64_f32_e32 v[40:41], v41
	v_fmac_f32_e32 v50, v151, v2
	v_fma_f32 v0, v136, v1, -v0
	v_fma_f32 v51, v151, v3, -v51
	v_cvt_f64_f32_e32 v[16:17], v42
	v_cvt_f64_f32_e32 v[20:21], v43
	;; [unrolled: 1-line block ×9, first 2 shown]
	v_mul_f64_e32 v[28:29], s[2:3], v[28:29]
	v_mul_f64_e32 v[30:31], s[2:3], v[30:31]
	v_mul_f64_e32 v[4:5], s[2:3], v[4:5]
	v_mul_f64_e32 v[10:11], s[2:3], v[10:11]
	v_add_co_u32 v52, vcc_lo, v22, s0
	v_mul_f64_e32 v[32:33], s[2:3], v[32:33]
	v_mul_f64_e32 v[34:35], s[2:3], v[34:35]
	;; [unrolled: 1-line block ×4, first 2 shown]
	s_wait_alu 0xfffd
	v_add_co_ci_u32_e32 v53, vcc_lo, s1, v23, vcc_lo
	s_wait_alu 0xfffe
	v_add_co_u32 v54, vcc_lo, v52, s4
	v_mul_f64_e32 v[14:15], s[2:3], v[14:15]
	v_mul_f64_e32 v[18:19], s[2:3], v[18:19]
	s_wait_alu 0xfffd
	v_add_co_ci_u32_e32 v55, vcc_lo, s5, v53, vcc_lo
	s_clause 0x2
	global_store_b64 v[22:23], v[26:27], off
	global_store_b64 v[52:53], v[24:25], off
	;; [unrolled: 1-line block ×3, first 2 shown]
	v_mul_f64_e32 v[6:7], s[2:3], v[38:39]
	v_mul_f64_e32 v[22:23], s[2:3], v[40:41]
	;; [unrolled: 1-line block ×11, first 2 shown]
	v_cvt_f32_f64_e32 v28, v[28:29]
	v_cvt_f32_f64_e32 v29, v[30:31]
	;; [unrolled: 1-line block ×4, first 2 shown]
	v_add_co_u32 v30, vcc_lo, v54, s0
	s_wait_alu 0xfffd
	v_add_co_ci_u32_e32 v31, vcc_lo, s1, v55, vcc_lo
	v_cvt_f32_f64_e32 v32, v[32:33]
	v_cvt_f32_f64_e32 v33, v[34:35]
	;; [unrolled: 1-line block ×4, first 2 shown]
	v_add_co_u32 v10, vcc_lo, v30, s4
	s_wait_alu 0xfffd
	v_add_co_ci_u32_e32 v11, vcc_lo, s5, v31, vcc_lo
	v_cvt_f32_f64_e32 v12, v[14:15]
	v_cvt_f32_f64_e32 v13, v[18:19]
	v_add_co_u32 v34, vcc_lo, v10, s0
	s_wait_alu 0xfffd
	v_add_co_ci_u32_e32 v35, vcc_lo, s1, v11, vcc_lo
	s_delay_alu instid0(VALU_DEP_2)
	v_add_co_u32 v14, vcc_lo, v34, s4
	v_cvt_f32_f64_e32 v6, v[6:7]
	v_cvt_f32_f64_e32 v7, v[22:23]
	s_wait_alu 0xfffd
	v_add_co_ci_u32_e32 v15, vcc_lo, s5, v35, vcc_lo
	v_cvt_f32_f64_e32 v16, v[16:17]
	v_cvt_f32_f64_e32 v17, v[20:21]
	;; [unrolled: 1-line block ×10, first 2 shown]
	v_add_co_u32 v8, vcc_lo, v14, s0
	s_wait_alu 0xfffd
	v_add_co_ci_u32_e32 v9, vcc_lo, s1, v15, vcc_lo
	global_store_b64 v[30:31], v[28:29], off
	v_add_co_u32 v22, vcc_lo, v8, s4
	s_wait_alu 0xfffd
	v_add_co_ci_u32_e32 v23, vcc_lo, s5, v9, vcc_lo
	global_store_b64 v[10:11], v[4:5], off
	v_add_co_u32 v4, vcc_lo, v22, s0
	s_wait_alu 0xfffd
	v_add_co_ci_u32_e32 v5, vcc_lo, s1, v23, vcc_lo
	global_store_b64 v[34:35], v[32:33], off
	v_add_co_u32 v10, vcc_lo, v4, s4
	s_wait_alu 0xfffd
	v_add_co_ci_u32_e32 v11, vcc_lo, s5, v5, vcc_lo
	global_store_b64 v[14:15], v[36:37], off
	v_add_co_u32 v14, vcc_lo, v10, s0
	s_wait_alu 0xfffd
	v_add_co_ci_u32_e32 v15, vcc_lo, s1, v11, vcc_lo
	global_store_b64 v[8:9], v[12:13], off
	v_add_co_u32 v8, vcc_lo, v14, s4
	s_wait_alu 0xfffd
	v_add_co_ci_u32_e32 v9, vcc_lo, s5, v15, vcc_lo
	global_store_b64 v[22:23], v[6:7], off
	v_add_co_u32 v6, vcc_lo, v8, s0
	s_wait_alu 0xfffd
	v_add_co_ci_u32_e32 v7, vcc_lo, s1, v9, vcc_lo
	global_store_b64 v[4:5], v[16:17], off
	global_store_b64 v[10:11], v[18:19], off
	global_store_b64 v[14:15], v[20:21], off
	;; [unrolled: 1-line block ×4, first 2 shown]
.LBB0_10:
	s_nop 0
	s_sendmsg sendmsg(MSG_DEALLOC_VGPRS)
	s_endpgm
	.section	.rodata,"a",@progbits
	.p2align	6, 0x0
	.amdhsa_kernel bluestein_single_fwd_len1078_dim1_sp_op_CI_CI
		.amdhsa_group_segment_fixed_size 25872
		.amdhsa_private_segment_fixed_size 0
		.amdhsa_kernarg_size 104
		.amdhsa_user_sgpr_count 2
		.amdhsa_user_sgpr_dispatch_ptr 0
		.amdhsa_user_sgpr_queue_ptr 0
		.amdhsa_user_sgpr_kernarg_segment_ptr 1
		.amdhsa_user_sgpr_dispatch_id 0
		.amdhsa_user_sgpr_private_segment_size 0
		.amdhsa_wavefront_size32 1
		.amdhsa_uses_dynamic_stack 0
		.amdhsa_enable_private_segment 0
		.amdhsa_system_sgpr_workgroup_id_x 1
		.amdhsa_system_sgpr_workgroup_id_y 0
		.amdhsa_system_sgpr_workgroup_id_z 0
		.amdhsa_system_sgpr_workgroup_info 0
		.amdhsa_system_vgpr_workitem_id 0
		.amdhsa_next_free_vgpr 228
		.amdhsa_next_free_sgpr 20
		.amdhsa_reserve_vcc 1
		.amdhsa_float_round_mode_32 0
		.amdhsa_float_round_mode_16_64 0
		.amdhsa_float_denorm_mode_32 3
		.amdhsa_float_denorm_mode_16_64 3
		.amdhsa_fp16_overflow 0
		.amdhsa_workgroup_processor_mode 1
		.amdhsa_memory_ordered 1
		.amdhsa_forward_progress 0
		.amdhsa_round_robin_scheduling 0
		.amdhsa_exception_fp_ieee_invalid_op 0
		.amdhsa_exception_fp_denorm_src 0
		.amdhsa_exception_fp_ieee_div_zero 0
		.amdhsa_exception_fp_ieee_overflow 0
		.amdhsa_exception_fp_ieee_underflow 0
		.amdhsa_exception_fp_ieee_inexact 0
		.amdhsa_exception_int_div_zero 0
	.end_amdhsa_kernel
	.text
.Lfunc_end0:
	.size	bluestein_single_fwd_len1078_dim1_sp_op_CI_CI, .Lfunc_end0-bluestein_single_fwd_len1078_dim1_sp_op_CI_CI
                                        ; -- End function
	.section	.AMDGPU.csdata,"",@progbits
; Kernel info:
; codeLenInByte = 20100
; NumSgprs: 22
; NumVgprs: 228
; ScratchSize: 0
; MemoryBound: 0
; FloatMode: 240
; IeeeMode: 1
; LDSByteSize: 25872 bytes/workgroup (compile time only)
; SGPRBlocks: 2
; VGPRBlocks: 28
; NumSGPRsForWavesPerEU: 22
; NumVGPRsForWavesPerEU: 228
; Occupancy: 6
; WaveLimiterHint : 1
; COMPUTE_PGM_RSRC2:SCRATCH_EN: 0
; COMPUTE_PGM_RSRC2:USER_SGPR: 2
; COMPUTE_PGM_RSRC2:TRAP_HANDLER: 0
; COMPUTE_PGM_RSRC2:TGID_X_EN: 1
; COMPUTE_PGM_RSRC2:TGID_Y_EN: 0
; COMPUTE_PGM_RSRC2:TGID_Z_EN: 0
; COMPUTE_PGM_RSRC2:TIDIG_COMP_CNT: 0
	.text
	.p2alignl 7, 3214868480
	.fill 96, 4, 3214868480
	.type	__hip_cuid_7dcd720b2fcfb4bb,@object ; @__hip_cuid_7dcd720b2fcfb4bb
	.section	.bss,"aw",@nobits
	.globl	__hip_cuid_7dcd720b2fcfb4bb
__hip_cuid_7dcd720b2fcfb4bb:
	.byte	0                               ; 0x0
	.size	__hip_cuid_7dcd720b2fcfb4bb, 1

	.ident	"AMD clang version 19.0.0git (https://github.com/RadeonOpenCompute/llvm-project roc-6.4.0 25133 c7fe45cf4b819c5991fe208aaa96edf142730f1d)"
	.section	".note.GNU-stack","",@progbits
	.addrsig
	.addrsig_sym __hip_cuid_7dcd720b2fcfb4bb
	.amdgpu_metadata
---
amdhsa.kernels:
  - .args:
      - .actual_access:  read_only
        .address_space:  global
        .offset:         0
        .size:           8
        .value_kind:     global_buffer
      - .actual_access:  read_only
        .address_space:  global
        .offset:         8
        .size:           8
        .value_kind:     global_buffer
      - .actual_access:  read_only
        .address_space:  global
        .offset:         16
        .size:           8
        .value_kind:     global_buffer
      - .actual_access:  read_only
        .address_space:  global
        .offset:         24
        .size:           8
        .value_kind:     global_buffer
      - .actual_access:  read_only
        .address_space:  global
        .offset:         32
        .size:           8
        .value_kind:     global_buffer
      - .offset:         40
        .size:           8
        .value_kind:     by_value
      - .address_space:  global
        .offset:         48
        .size:           8
        .value_kind:     global_buffer
      - .address_space:  global
        .offset:         56
        .size:           8
        .value_kind:     global_buffer
      - .address_space:  global
        .offset:         64
        .size:           8
        .value_kind:     global_buffer
      - .address_space:  global
        .offset:         72
        .size:           8
        .value_kind:     global_buffer
      - .offset:         80
        .size:           4
        .value_kind:     by_value
      - .address_space:  global
        .offset:         88
        .size:           8
        .value_kind:     global_buffer
      - .address_space:  global
        .offset:         96
        .size:           8
        .value_kind:     global_buffer
    .group_segment_fixed_size: 25872
    .kernarg_segment_align: 8
    .kernarg_segment_size: 104
    .language:       OpenCL C
    .language_version:
      - 2
      - 0
    .max_flat_workgroup_size: 231
    .name:           bluestein_single_fwd_len1078_dim1_sp_op_CI_CI
    .private_segment_fixed_size: 0
    .sgpr_count:     22
    .sgpr_spill_count: 0
    .symbol:         bluestein_single_fwd_len1078_dim1_sp_op_CI_CI.kd
    .uniform_work_group_size: 1
    .uses_dynamic_stack: false
    .vgpr_count:     228
    .vgpr_spill_count: 0
    .wavefront_size: 32
    .workgroup_processor_mode: 1
amdhsa.target:   amdgcn-amd-amdhsa--gfx1201
amdhsa.version:
  - 1
  - 2
...

	.end_amdgpu_metadata
